;; amdgpu-corpus repo=ROCm/rocFFT kind=compiled arch=gfx1030 opt=O3
	.text
	.amdgcn_target "amdgcn-amd-amdhsa--gfx1030"
	.amdhsa_code_object_version 6
	.protected	fft_rtc_fwd_len289_factors_17_17_wgs_119_tpt_17_dp_op_CI_CI_sbrc_unaligned ; -- Begin function fft_rtc_fwd_len289_factors_17_17_wgs_119_tpt_17_dp_op_CI_CI_sbrc_unaligned
	.globl	fft_rtc_fwd_len289_factors_17_17_wgs_119_tpt_17_dp_op_CI_CI_sbrc_unaligned
	.p2align	8
	.type	fft_rtc_fwd_len289_factors_17_17_wgs_119_tpt_17_dp_op_CI_CI_sbrc_unaligned,@function
fft_rtc_fwd_len289_factors_17_17_wgs_119_tpt_17_dp_op_CI_CI_sbrc_unaligned: ; @fft_rtc_fwd_len289_factors_17_17_wgs_119_tpt_17_dp_op_CI_CI_sbrc_unaligned
; %bb.0:
	s_clause 0x1
	s_load_dwordx8 s[8:15], s[4:5], 0x0
	s_load_dwordx2 s[24:25], s[4:5], 0x20
	s_mov_b64 s[30:31], 2
	s_waitcnt lgkmcnt(0)
	s_load_dword s33, s[12:13], 0x8
	s_load_dwordx4 s[20:23], s[14:15], 0x0
	s_waitcnt lgkmcnt(0)
	s_add_i32 s0, s33, -1
	s_mul_hi_u32 s1, s0, 0x24924925
	s_sub_i32 s0, s0, s1
	s_lshr_b32 s0, s0, 1
	s_add_i32 s0, s0, s1
	s_lshr_b32 s0, s0, 2
	s_add_i32 s7, s0, 1
	v_cvt_f32_u32_e32 v1, s7
	s_sub_i32 s1, 0, s7
	v_rcp_iflag_f32_e32 v1, v1
	v_mul_f32_e32 v1, 0x4f7ffffe, v1
	v_cvt_u32_f32_e32 v1, v1
	v_readfirstlane_b32 s0, v1
	s_mul_i32 s1, s1, s0
	s_mul_hi_u32 s1, s0, s1
	s_add_i32 s0, s0, s1
	s_mul_hi_u32 s26, s6, s0
	s_load_dwordx4 s[0:3], s[24:25], 0x0
	s_mul_i32 s16, s26, s7
	s_add_i32 s23, s26, 1
	s_waitcnt lgkmcnt(0)
	s_sub_i32 s3, s6, s16
	s_load_dwordx4 s[16:19], s[4:5], 0x58
	s_sub_i32 s27, s3, s7
	s_cmp_ge_u32 s3, s7
	s_cselect_b32 s4, s23, s26
	s_cselect_b32 s3, s27, s3
	s_add_i32 s5, s4, 1
	s_cmp_ge_u32 s3, s7
	s_mov_b32 s26, 0
	s_cselect_b32 s62, s5, s4
	v_cmp_gt_u64_e64 s4, s[10:11], 2
	s_mul_i32 s3, s62, s7
	s_mov_b32 s23, s26
	s_sub_i32 s3, s6, s3
	s_mul_i32 s3, s3, 7
	s_and_b32 vcc_lo, exec_lo, s4
	s_mul_i32 s5, s1, s3
	s_mul_hi_u32 s27, s0, s3
	s_mul_i32 s38, s3, s22
	s_mul_i32 s4, s0, s3
	s_add_i32 s5, s27, s5
	s_cbranch_vccz .LBB0_9
; %bb.1:
	s_mov_b32 s28, 3
.LBB0_2:                                ; =>This Inner Loop Header: Depth=1
	s_lshl_b64 s[34:35], s[30:31], 3
	s_add_u32 s30, s12, s34
	s_addc_u32 s31, s13, s35
	s_load_dwordx2 s[30:31], s[30:31], 0x0
	s_waitcnt lgkmcnt(0)
	s_mov_b32 s27, s31
	s_cmp_lg_u64 s[26:27], 0
	s_cbranch_scc0 .LBB0_7
; %bb.3:                                ;   in Loop: Header=BB0_2 Depth=1
	v_cvt_f32_u32_e32 v1, s30
	v_cvt_f32_u32_e32 v2, s31
	s_sub_u32 s36, 0, s30
	s_subb_u32 s37, 0, s31
	v_fmac_f32_e32 v1, 0x4f800000, v2
	v_rcp_f32_e32 v1, v1
	v_mul_f32_e32 v1, 0x5f7ffffc, v1
	v_mul_f32_e32 v2, 0x2f800000, v1
	v_trunc_f32_e32 v2, v2
	v_fmac_f32_e32 v1, 0xcf800000, v2
	v_cvt_u32_f32_e32 v2, v2
	v_cvt_u32_f32_e32 v1, v1
	v_readfirstlane_b32 s27, v2
	v_readfirstlane_b32 s29, v1
	s_mul_i32 s39, s36, s27
	s_mul_hi_u32 s41, s36, s29
	s_mul_i32 s40, s37, s29
	s_add_i32 s39, s41, s39
	s_mul_i32 s42, s36, s29
	s_add_i32 s39, s39, s40
	s_mul_hi_u32 s41, s29, s42
	s_mul_hi_u32 s43, s27, s42
	s_mul_i32 s40, s27, s42
	s_mul_hi_u32 s42, s29, s39
	s_mul_i32 s29, s29, s39
	s_mul_hi_u32 s44, s27, s39
	s_add_u32 s29, s41, s29
	s_addc_u32 s41, 0, s42
	s_add_u32 s29, s29, s40
	s_mul_i32 s39, s27, s39
	s_addc_u32 s29, s41, s43
	s_addc_u32 s40, s44, 0
	s_add_u32 s29, s29, s39
	s_addc_u32 s39, 0, s40
	v_add_co_u32 v1, s29, v1, s29
	s_cmp_lg_u32 s29, 0
	s_addc_u32 s27, s27, s39
	v_readfirstlane_b32 s29, v1
	s_mul_i32 s39, s36, s27
	s_mul_hi_u32 s40, s36, s29
	s_mul_i32 s37, s37, s29
	s_add_i32 s39, s40, s39
	s_mul_i32 s36, s36, s29
	s_add_i32 s39, s39, s37
	s_mul_hi_u32 s40, s27, s36
	s_mul_i32 s41, s27, s36
	s_mul_hi_u32 s36, s29, s36
	s_mul_hi_u32 s42, s29, s39
	s_mul_i32 s29, s29, s39
	s_mul_hi_u32 s37, s27, s39
	s_add_u32 s29, s36, s29
	s_addc_u32 s36, 0, s42
	s_add_u32 s29, s29, s41
	s_mul_i32 s39, s27, s39
	s_addc_u32 s29, s36, s40
	s_addc_u32 s36, s37, 0
	s_add_u32 s29, s29, s39
	s_addc_u32 s36, 0, s36
	v_add_co_u32 v1, s29, v1, s29
	s_cmp_lg_u32 s29, 0
	s_addc_u32 s27, s27, s36
	v_readfirstlane_b32 s29, v1
	s_mul_i32 s36, s62, s27
	s_mul_hi_u32 s27, s62, s27
	s_mul_hi_u32 s29, s62, s29
	s_add_u32 s29, s29, s36
	s_addc_u32 s29, 0, s27
	s_mul_i32 s27, s31, s29
	s_mul_hi_u32 s36, s30, s29
	s_mul_i32 s37, s30, s29
	s_add_i32 s36, s36, s27
	v_sub_co_u32 v1, s27, s62, s37
	s_sub_i32 s37, 0, s36
	s_cmp_lg_u32 s27, 0
	v_sub_co_u32 v2, s39, v1, s30
	s_subb_u32 s37, s37, s31
	s_cmp_lg_u32 s39, 0
	v_readfirstlane_b32 s39, v2
	s_subb_u32 s37, s37, 0
	s_cmp_ge_u32 s37, s31
	s_cselect_b32 s40, -1, 0
	s_cmp_ge_u32 s39, s30
	s_cselect_b32 s39, -1, 0
	s_cmp_eq_u32 s37, s31
	s_cselect_b32 s37, s39, s40
	s_add_u32 s39, s29, 1
	s_addc_u32 s40, 0, 0
	s_add_u32 s41, s29, 2
	s_addc_u32 s42, 0, 0
	s_cmp_lg_u32 s37, 0
	s_cselect_b32 s39, s41, s39
	s_cselect_b32 s37, s42, s40
	s_cmp_lg_u32 s27, 0
	v_readfirstlane_b32 s27, v1
	s_subb_u32 s36, 0, s36
	s_cmp_ge_u32 s36, s31
	s_cselect_b32 s40, -1, 0
	s_cmp_ge_u32 s27, s30
	s_cselect_b32 s27, -1, 0
	s_cmp_eq_u32 s36, s31
	s_cselect_b32 s27, s27, s40
	s_cmp_lg_u32 s27, 0
	s_cselect_b32 s37, s37, 0
	s_cselect_b32 s36, s39, s29
	s_cbranch_execnz .LBB0_5
.LBB0_4:                                ;   in Loop: Header=BB0_2 Depth=1
	v_cvt_f32_u32_e32 v1, s30
	s_sub_i32 s29, 0, s30
	v_rcp_iflag_f32_e32 v1, v1
	v_mul_f32_e32 v1, 0x4f7ffffe, v1
	v_cvt_u32_f32_e32 v1, v1
	v_readfirstlane_b32 s27, v1
	s_mul_i32 s29, s29, s27
	s_mul_hi_u32 s29, s27, s29
	s_add_i32 s27, s27, s29
	s_mul_hi_u32 s27, s62, s27
	s_mul_i32 s29, s27, s30
	s_add_i32 s36, s27, 1
	s_sub_i32 s29, s62, s29
	s_sub_i32 s37, s29, s30
	s_cmp_ge_u32 s29, s30
	s_cselect_b32 s27, s36, s27
	s_cselect_b32 s29, s37, s29
	s_add_i32 s36, s27, 1
	s_cmp_ge_u32 s29, s30
	s_mov_b32 s37, s26
	s_cselect_b32 s36, s36, s27
.LBB0_5:                                ;   in Loop: Header=BB0_2 Depth=1
	s_mul_i32 s27, s36, s31
	s_mul_hi_u32 s29, s36, s30
	s_mul_i32 s31, s36, s30
	s_add_i32 s27, s29, s27
	s_mul_i32 s29, s37, s30
	s_mul_i32 s7, s7, s30
	s_add_i32 s27, s27, s29
	s_sub_u32 s37, s62, s31
	s_subb_u32 s27, 0, s27
	s_add_u32 s40, s14, s34
	s_addc_u32 s41, s15, s35
	s_load_dwordx2 s[40:41], s[40:41], 0x0
	s_waitcnt lgkmcnt(0)
	s_mul_i32 s29, s40, s27
	s_mul_hi_u32 s31, s40, s37
	s_mul_i32 s39, s41, s37
	s_add_i32 s29, s31, s29
	s_mul_i32 s31, s40, s37
	s_add_i32 s29, s29, s39
	s_add_u32 s38, s31, s38
	s_addc_u32 s23, s29, s23
	s_add_u32 s34, s24, s34
	s_addc_u32 s35, s25, s35
	s_mov_b32 s29, s26
	s_load_dwordx2 s[34:35], s[34:35], 0x0
	s_mov_b64 s[30:31], s[28:29]
	v_cmp_ge_u64_e64 s29, s[28:29], s[10:11]
	s_waitcnt lgkmcnt(0)
	s_mul_i32 s27, s34, s27
	s_mul_hi_u32 s39, s34, s37
	s_mul_i32 s35, s35, s37
	s_add_i32 s27, s39, s27
	s_mul_i32 s34, s34, s37
	s_add_i32 s27, s27, s35
	s_add_u32 s4, s34, s4
	s_addc_u32 s5, s27, s5
	s_and_b32 vcc_lo, exec_lo, s29
	s_add_i32 s28, s28, 1
	s_cbranch_vccnz .LBB0_8
; %bb.6:                                ;   in Loop: Header=BB0_2 Depth=1
	s_mov_b32 s62, s36
	s_branch .LBB0_2
.LBB0_7:                                ;   in Loop: Header=BB0_2 Depth=1
                                        ; implicit-def: $sgpr36_sgpr37
	s_branch .LBB0_4
.LBB0_8:
	v_cvt_f32_u32_e32 v1, s7
	s_sub_i32 s13, 0, s7
	v_rcp_iflag_f32_e32 v1, v1
	v_mul_f32_e32 v1, 0x4f7ffffe, v1
	v_cvt_u32_f32_e32 v1, v1
	v_readfirstlane_b32 s12, v1
	s_mul_i32 s13, s13, s12
	s_mul_hi_u32 s13, s12, s13
	s_add_i32 s12, s12, s13
	s_mul_hi_u32 s12, s6, s12
	s_mul_i32 s13, s12, s7
	s_sub_i32 s6, s6, s13
	s_add_i32 s13, s12, 1
	s_sub_i32 s26, s6, s7
	s_cmp_ge_u32 s6, s7
	s_cselect_b32 s12, s13, s12
	s_cselect_b32 s6, s26, s6
	s_add_i32 s13, s12, 1
	s_cmp_ge_u32 s6, s7
	s_cselect_b32 s62, s13, s12
.LBB0_9:
	s_lshl_b64 s[6:7], s[10:11], 3
	v_lshl_add_u32 v3, v0, 4, 0
	s_add_u32 s10, s14, s6
	s_addc_u32 s11, s15, s7
	s_mov_b32 s13, -1
	s_load_dwordx2 s[10:11], s[10:11], 0x0
	s_waitcnt lgkmcnt(0)
	s_mul_i32 s11, s11, s62
	s_mul_hi_u32 s12, s10, s62
	s_mul_i32 s10, s10, s62
	s_add_i32 s12, s12, s11
	s_add_u32 s10, s10, s38
	s_addc_u32 s11, s12, s23
	s_add_u32 s6, s24, s6
	s_addc_u32 s7, s25, s7
	s_add_i32 s12, s3, 7
	s_load_dwordx2 s[6:7], s[6:7], 0x0
	s_cmp_le_u32 s12, s33
	s_mov_b32 s12, 0
	s_cselect_b32 s63, -1, 0
	s_and_b32 vcc_lo, exec_lo, s63
	s_cbranch_vccnz .LBB0_13
; %bb.10:
	s_lshl_b64 s[14:15], s[10:11], 4
	v_mov_b32_e32 v2, 0
	v_mov_b32_e32 v4, 0xe2c5
	;; [unrolled: 1-line block ×4, first 2 shown]
	s_add_u32 s13, s16, s14
	s_addc_u32 s14, s17, s15
	s_inst_prefetch 0x1
	.p2align	6
.LBB0_11:                               ; =>This Inner Loop Header: Depth=1
	v_mul_u32_u24_sdwa v1, v5, v4 dst_sel:DWORD dst_unused:UNUSED_PAD src0_sel:WORD_0 src1_sel:DWORD
	v_lshrrev_b32_e32 v10, 24, v1
	v_mul_lo_u16 v1, 0x121, v10
	v_sub_nc_u16 v1, v5, v1
	v_add_nc_u32_e32 v5, 0x77, v5
	v_and_b32_e32 v9, 0xffff, v1
	v_mad_u64_u32 v[7:8], null, s20, v9, 0
	v_mov_b32_e32 v1, v8
	v_mad_u64_u32 v[8:9], null, s21, v9, v[1:2]
	v_mul_lo_u32 v1, s22, v10
	v_lshlrev_b64 v[7:8], 4, v[7:8]
	v_lshlrev_b64 v[9:10], 4, v[1:2]
	v_add_co_u32 v1, vcc_lo, s13, v7
	v_add_co_ci_u32_e32 v8, vcc_lo, s14, v8, vcc_lo
	v_add_co_u32 v7, vcc_lo, v1, v9
	v_add_co_ci_u32_e32 v8, vcc_lo, v8, v10, vcc_lo
	v_cmp_lt_u32_e32 vcc_lo, 0x7e6, v5
	global_load_dwordx4 v[7:10], v[7:8], off
	s_or_b32 s12, vcc_lo, s12
	s_waitcnt vmcnt(0)
	ds_write_b128 v6, v[7:10]
	v_add_nc_u32_e32 v6, 0x770, v6
	s_andn2_b32 exec_lo, exec_lo, s12
	s_cbranch_execnz .LBB0_11
; %bb.12:
	s_inst_prefetch 0x2
	s_or_b32 exec_lo, exec_lo, s12
	s_mov_b32 s13, 0
.LBB0_13:
	v_and_b32_e32 v1, 0xffff, v0
	s_and_b32 vcc_lo, exec_lo, s13
	s_cbranch_vccz .LBB0_15
; %bb.14:
	v_add_nc_u32_e32 v6, 0xee, v0
	v_add_nc_u32_e32 v14, 0x165, v0
	;; [unrolled: 1-line block ×4, first 2 shown]
	v_mad_u64_u32 v[4:5], null, s20, v1, 0
	v_mul_u32_u24_e32 v2, 0xe3, v6
	v_mul_u32_u24_e32 v9, 0xe3, v14
	;; [unrolled: 1-line block ×3, first 2 shown]
	v_add_nc_u32_e32 v17, 0x253, v0
	s_lshl_b64 s[10:11], s[10:11], 4
	v_lshrrev_b32_e32 v12, 16, v2
	v_lshrrev_b32_e32 v18, 16, v9
	;; [unrolled: 1-line block ×3, first 2 shown]
	v_mul_u32_u24_e32 v19, 0xe3, v17
	v_mov_b32_e32 v2, 0
	v_mul_lo_u16 v7, 0x121, v12
	v_mul_lo_u16 v20, 0x121, v18
	s_add_u32 s10, s16, s10
	v_lshrrev_b32_e32 v25, 16, v19
	s_addc_u32 s11, s17, s11
	v_sub_nc_u16 v8, v6, v7
	v_mad_u64_u32 v[6:7], null, s20, v13, 0
	v_sub_nc_u16 v14, v14, v20
	v_add_nc_u32_e32 v22, 0x2ca, v0
	v_and_b32_e32 v16, 0xffff, v8
	v_add_nc_u32_e32 v26, 0x341, v0
	v_add_nc_u32_e32 v27, 0x3b8, v0
	v_and_b32_e32 v20, 0xffff, v14
	v_mad_u64_u32 v[10:11], null, s21, v1, v[5:6]
	v_mad_u64_u32 v[8:9], null, s20, v16, 0
	v_mov_b32_e32 v5, v7
	v_mul_lo_u32 v1, s22, v12
	v_add_nc_u32_e32 v31, 0x4a6, v0
	v_add_nc_u32_e32 v36, 0x594, v0
	;; [unrolled: 1-line block ×3, first 2 shown]
	v_mad_u64_u32 v[11:12], null, s21, v13, v[5:6]
	v_mov_b32_e32 v7, v9
	v_mul_lo_u16 v9, 0x121, v21
	v_mov_b32_e32 v5, v10
	v_add_nc_u32_e32 v39, 0x6f9, v0
	v_mad_u64_u32 v[12:13], null, s21, v16, v[7:8]
	v_mad_u64_u32 v[13:14], null, s20, v20, 0
	v_sub_nc_u16 v19, v15, v9
	v_lshlrev_b64 v[4:5], 4, v[4:5]
	v_mov_b32_e32 v7, v11
	v_lshlrev_b64 v[10:11], 4, v[1:2]
	v_mov_b32_e32 v9, v12
	v_mov_b32_e32 v1, v14
	v_lshlrev_b64 v[6:7], 4, v[6:7]
	v_add_co_u32 v4, vcc_lo, s10, v4
	v_lshlrev_b64 v[8:9], 4, v[8:9]
	v_add_co_ci_u32_e32 v5, vcc_lo, s11, v5, vcc_lo
	v_mad_u64_u32 v[14:15], null, s21, v20, v[1:2]
	v_add_co_u32 v1, vcc_lo, s10, v8
	v_add_co_ci_u32_e32 v12, vcc_lo, s11, v9, vcc_lo
	v_add_co_u32 v8, vcc_lo, s10, v6
	v_add_co_ci_u32_e32 v9, vcc_lo, s11, v7, vcc_lo
	;; [unrolled: 2-line block ×3, first 2 shown]
	v_mul_lo_u16 v11, 0x121, v25
	v_and_b32_e32 v10, 0xffff, v19
	v_mul_lo_u32 v1, s22, v18
	v_lshlrev_b64 v[6:7], 4, v[13:14]
	v_mul_u32_u24_e32 v14, 0xe3, v22
	v_sub_nc_u16 v11, v17, v11
	v_mad_u64_u32 v[12:13], null, s20, v10, 0
	v_add_co_u32 v19, vcc_lo, s10, v6
	v_and_b32_e32 v11, 0xffff, v11
	v_add_co_ci_u32_e32 v20, vcc_lo, s11, v7, vcc_lo
	v_lshlrev_b64 v[6:7], 4, v[1:2]
	v_lshrrev_b32_e32 v14, 16, v14
	v_mad_u64_u32 v[17:18], null, s20, v11, 0
	v_mov_b32_e32 v1, v13
	v_mul_lo_u16 v13, 0x121, v14
	v_add_co_u32 v19, vcc_lo, v19, v6
	v_add_co_ci_u32_e32 v20, vcc_lo, v20, v7, vcc_lo
	v_mad_u64_u32 v[6:7], null, s21, v10, v[1:2]
	v_mov_b32_e32 v7, v18
	v_sub_nc_u16 v13, v22, v13
	v_mul_lo_u32 v1, s22, v21
	v_mad_u64_u32 v[10:11], null, s21, v11, v[7:8]
	v_mul_u32_u24_e32 v11, 0xe3, v26
	v_and_b32_e32 v7, 0xffff, v13
	v_mov_b32_e32 v13, v6
	v_mul_u32_u24_e32 v6, 0x717, v27
	v_lshlrev_b64 v[23:24], 4, v[1:2]
	v_lshrrev_b32_e32 v53, 16, v11
	v_add_nc_u32_e32 v11, 0x42f, v0
	v_mad_u64_u32 v[21:22], null, s20, v7, 0
	v_lshrrev_b32_e32 v54, 19, v6
	v_mov_b32_e32 v18, v10
	v_mul_u32_u24_e32 v28, 0x717, v11
	v_mul_lo_u16 v10, 0x121, v53
	v_mul_lo_u32 v1, s22, v25
	v_mov_b32_e32 v6, v22
	v_mul_lo_u16 v22, 0x121, v54
	v_lshrrev_b32_e32 v55, 19, v28
	v_sub_nc_u16 v10, v26, v10
	v_lshlrev_b64 v[17:18], 4, v[17:18]
	v_mad_u64_u32 v[6:7], null, s21, v7, v[6:7]
	v_sub_nc_u16 v7, v27, v22
	v_mul_lo_u16 v22, 0x121, v55
	v_and_b32_e32 v10, 0xffff, v10
	v_and_b32_e32 v32, 0xffff, v7
	v_sub_nc_u16 v7, v11, v22
	v_mul_u32_u24_e32 v11, 0x717, v31
	v_add_nc_u32_e32 v22, 0x51d, v0
	v_mad_u64_u32 v[25:26], null, s20, v10, 0
	v_and_b32_e32 v33, 0xffff, v7
	v_lshrrev_b32_e32 v56, 19, v11
	v_mul_u32_u24_e32 v11, 0x717, v22
	v_mad_u64_u32 v[27:28], null, s20, v32, 0
	v_mad_u64_u32 v[29:30], null, s20, v33, 0
	v_mov_b32_e32 v7, v26
	v_mul_lo_u16 v26, 0x121, v56
	v_lshrrev_b32_e32 v57, 19, v11
	v_mad_u64_u32 v[10:11], null, s21, v10, v[7:8]
	v_mov_b32_e32 v7, v28
	v_sub_nc_u16 v26, v31, v26
	v_mul_lo_u16 v28, 0x121, v57
	v_mov_b32_e32 v11, v30
	v_mad_u64_u32 v[30:31], null, s21, v32, v[7:8]
	v_and_b32_e32 v7, 0xffff, v26
	v_sub_nc_u16 v22, v22, v28
	v_mad_u64_u32 v[31:32], null, s21, v33, v[11:12]
	v_mov_b32_e32 v26, v10
	v_mad_u64_u32 v[32:33], null, s20, v7, 0
	v_and_b32_e32 v11, 0xffff, v22
	v_mov_b32_e32 v22, v6
	v_mul_u32_u24_e32 v10, 0x717, v36
	v_mov_b32_e32 v28, v30
	v_mov_b32_e32 v30, v31
	v_mad_u64_u32 v[34:35], null, s20, v11, 0
	v_mov_b32_e32 v6, v33
	v_add_nc_u32_e32 v31, 0x60b, v0
	v_lshrrev_b32_e32 v58, 19, v10
	v_lshlrev_b64 v[12:13], 4, v[12:13]
	v_lshlrev_b64 v[21:22], 4, v[21:22]
	v_mad_u64_u32 v[6:7], null, s21, v7, v[6:7]
	v_mov_b32_e32 v7, v35
	v_mul_u32_u24_e32 v33, 0x717, v31
	v_mul_u32_u24_e32 v35, 0x717, v39
	v_add_co_u32 v12, vcc_lo, s10, v12
	v_mad_u64_u32 v[10:11], null, s21, v11, v[7:8]
	v_mul_lo_u16 v7, 0x121, v58
	v_lshrrev_b32_e32 v59, 19, v33
	v_mul_u32_u24_e32 v11, 0x717, v38
	v_mov_b32_e32 v33, v6
	v_lshrrev_b32_e32 v61, 19, v35
	v_sub_nc_u16 v6, v36, v7
	v_add_nc_u32_e32 v7, 0x770, v0
	v_mul_lo_u16 v36, 0x121, v59
	v_lshrrev_b32_e32 v60, 19, v11
	v_mov_b32_e32 v35, v10
	v_and_b32_e32 v11, 0xffff, v6
	v_mul_u32_u24_e32 v10, 0x717, v7
	v_sub_nc_u16 v6, v31, v36
	v_mul_lo_u16 v31, 0x121, v60
	v_mul_lo_u16 v40, 0x121, v61
	v_mad_u64_u32 v[36:37], null, s20, v11, 0
	v_lshrrev_b32_e32 v62, 19, v10
	v_and_b32_e32 v46, 0xffff, v6
	v_sub_nc_u16 v6, v38, v31
	v_sub_nc_u16 v31, v39, v40
	v_add_co_ci_u32_e32 v13, vcc_lo, s11, v13, vcc_lo
	v_mul_lo_u16 v10, 0x121, v62
	v_mad_u64_u32 v[38:39], null, s20, v46, 0
	v_and_b32_e32 v48, 0xffff, v6
	v_and_b32_e32 v31, 0xffff, v31
	v_sub_nc_u16 v7, v7, v10
	v_mov_b32_e32 v6, v37
	v_lshlrev_b64 v[25:26], 4, v[25:26]
	v_mad_u64_u32 v[40:41], null, s20, v48, 0
	v_and_b32_e32 v37, 0xffff, v7
	v_mad_u64_u32 v[42:43], null, s20, v31, 0
	v_mov_b32_e32 v7, v39
	v_lshlrev_b64 v[27:28], 4, v[27:28]
	v_mad_u64_u32 v[44:45], null, s20, v37, 0
	v_lshlrev_b64 v[29:30], 4, v[29:30]
	v_mad_u64_u32 v[10:11], null, s21, v11, v[6:7]
	v_mov_b32_e32 v6, v41
	v_mad_u64_u32 v[46:47], null, s21, v46, v[7:8]
	v_mov_b32_e32 v7, v43
	;; [unrolled: 2-line block ×3, first 2 shown]
	v_mad_u64_u32 v[48:49], null, s21, v31, v[7:8]
	v_lshlrev_b64 v[49:50], 4, v[1:2]
	v_mul_lo_u32 v1, s22, v14
	v_mad_u64_u32 v[51:52], null, s21, v37, v[6:7]
	v_mov_b32_e32 v37, v10
	v_mov_b32_e32 v39, v46
	;; [unrolled: 1-line block ×4, first 2 shown]
	v_add_co_u32 v14, vcc_lo, s10, v17
	v_mov_b32_e32 v45, v51
	v_add_co_ci_u32_e32 v17, vcc_lo, s11, v18, vcc_lo
	v_add_co_u32 v18, vcc_lo, s10, v21
	v_lshlrev_b64 v[31:32], 4, v[32:33]
	v_lshlrev_b64 v[33:34], 4, v[34:35]
	;; [unrolled: 1-line block ×7, first 2 shown]
	v_add_co_ci_u32_e32 v45, vcc_lo, s11, v22, vcc_lo
	v_lshlrev_b64 v[46:47], 4, v[1:2]
	v_mul_lo_u32 v1, s22, v53
	v_add_co_u32 v48, vcc_lo, s10, v25
	v_add_co_ci_u32_e32 v51, vcc_lo, s11, v26, vcc_lo
	v_add_co_u32 v52, vcc_lo, s10, v27
	v_add_co_ci_u32_e32 v53, vcc_lo, s11, v28, vcc_lo
	;; [unrolled: 2-line block ×3, first 2 shown]
	v_lshlrev_b64 v[12:13], 4, v[1:2]
	v_mul_lo_u32 v1, s22, v54
	v_add_co_u32 v54, vcc_lo, s10, v29
	v_add_co_ci_u32_e32 v63, vcc_lo, s11, v30, vcc_lo
	v_add_co_u32 v64, vcc_lo, s10, v31
	v_add_co_ci_u32_e32 v65, vcc_lo, s11, v32, vcc_lo
	v_lshlrev_b64 v[23:24], 4, v[1:2]
	v_mul_lo_u32 v1, s22, v55
	v_add_co_u32 v55, vcc_lo, s10, v33
	v_add_co_ci_u32_e32 v66, vcc_lo, s11, v34, vcc_lo
	v_add_co_u32 v25, vcc_lo, v14, v49
	v_add_co_ci_u32_e32 v26, vcc_lo, v17, v50, vcc_lo
	;; [unrolled: 6-line block ×9, first 2 shown]
	v_lshlrev_b64 v[1:2], 4, v[1:2]
	v_add_co_u32 v64, vcc_lo, v58, v54
	v_add_co_ci_u32_e32 v65, vcc_lo, v72, v55, vcc_lo
	s_clause 0x1
	global_load_dwordx4 v[4:7], v[4:5], off
	global_load_dwordx4 v[8:11], v[8:9], off
	v_add_co_u32 v1, vcc_lo, v73, v1
	s_clause 0x7
	global_load_dwordx4 v[12:15], v[15:16], off
	global_load_dwordx4 v[16:19], v[19:20], off
	;; [unrolled: 1-line block ×8, first 2 shown]
	v_add_co_ci_u32_e32 v2, vcc_lo, v74, v2, vcc_lo
	s_clause 0x6
	global_load_dwordx4 v[44:47], v[45:46], off
	global_load_dwordx4 v[48:51], v[49:50], off
	;; [unrolled: 1-line block ×7, first 2 shown]
	s_waitcnt vmcnt(16)
	ds_write_b128 v3, v[4:7]
	s_waitcnt vmcnt(15)
	ds_write_b128 v3, v[8:11] offset:1904
	s_waitcnt vmcnt(14)
	ds_write_b128 v3, v[12:15] offset:3808
	s_waitcnt vmcnt(13)
	ds_write_b128 v3, v[16:19] offset:5712
	s_waitcnt vmcnt(12)
	ds_write_b128 v3, v[20:23] offset:7616
	s_waitcnt vmcnt(11)
	ds_write_b128 v3, v[24:27] offset:9520
	s_waitcnt vmcnt(10)
	ds_write_b128 v3, v[28:31] offset:11424
	s_waitcnt vmcnt(9)
	ds_write_b128 v3, v[32:35] offset:13328
	s_waitcnt vmcnt(8)
	ds_write_b128 v3, v[36:39] offset:15232
	s_waitcnt vmcnt(7)
	ds_write_b128 v3, v[40:43] offset:17136
	s_waitcnt vmcnt(6)
	ds_write_b128 v3, v[44:47] offset:19040
	s_waitcnt vmcnt(5)
	ds_write_b128 v3, v[48:51] offset:20944
	s_waitcnt vmcnt(4)
	ds_write_b128 v3, v[52:55] offset:22848
	s_waitcnt vmcnt(3)
	ds_write_b128 v3, v[56:59] offset:24752
	s_waitcnt vmcnt(2)
	ds_write_b128 v3, v[60:63] offset:26656
	s_waitcnt vmcnt(1)
	ds_write_b128 v3, v[64:67] offset:28560
	s_waitcnt vmcnt(0)
	ds_write_b128 v3, v[68:71] offset:30464
.LBB0_15:
	v_mov_b32_e32 v1, 0xf10
	s_waitcnt lgkmcnt(0)
	s_barrier
	buffer_gl0_inv
	s_mov_b32 s16, 0x5d8e7cdc
	v_mul_u32_u24_sdwa v1, v0, v1 dst_sel:DWORD dst_unused:UNUSED_PAD src0_sel:WORD_0 src1_sel:DWORD
	s_mov_b32 s17, 0xbfd71e95
	s_mov_b32 s14, 0x370991
	;; [unrolled: 1-line block ×4, first 2 shown]
	v_add_nc_u32_sdwa v1, s3, v1 dst_sel:DWORD dst_unused:UNUSED_PAD src0_sel:DWORD src1_sel:WORD_1
	s_mov_b32 s41, 0xbfe58eea
	s_mov_b32 s10, 0x75d4884
	;; [unrolled: 1-line block ×4, first 2 shown]
	v_mul_hi_u32 v2, 0x24924925, v1
	s_mov_b32 s45, 0xbfeca52d
	s_mov_b32 s12, 0x2b2883cd
	;; [unrolled: 1-line block ×7, first 2 shown]
	v_sub_nc_u32_e32 v3, v1, v2
	s_mov_b32 s21, 0x3fb79ee6
	s_mov_b32 s27, 0xbfeec746
	;; [unrolled: 1-line block ×4, first 2 shown]
	v_lshrrev_b32_e32 v3, 1, v3
	s_mov_b32 s34, 0xacd6c6b4
	s_mov_b32 s24, 0xc61f0d01
	;; [unrolled: 1-line block ×4, first 2 shown]
	v_add_nc_u32_e32 v2, v3, v2
	v_mul_hi_u32 v3, 0xf0f0f10, v0
	s_mov_b32 s35, 0xbfc7851a
	s_mov_b32 s25, 0xbfd183b1
	;; [unrolled: 1-line block ×3, first 2 shown]
	v_lshrrev_b32_e32 v2, 2, v2
	s_mov_b32 s38, 0x910ea3b9
	s_mov_b32 s28, 0x7faef3
	;; [unrolled: 1-line block ×4, first 2 shown]
	v_mul_lo_u32 v2, v2, 7
	s_mov_b32 s29, 0xbfef7484
	s_mov_b32 s55, 0x3fe0d888
	;; [unrolled: 1-line block ×7, first 2 shown]
	v_sub_nc_u32_e32 v1, v1, v2
	v_mul_u32_u24_e32 v2, 17, v3
	s_mov_b32 s53, 0x3fd71e95
	s_mov_b32 s52, s16
	;; [unrolled: 1-line block ×3, first 2 shown]
	v_mul_u32_u24_e32 v1, 0x121, v1
	v_sub_nc_u32_e32 v147, v0, v2
	s_mov_b32 s60, s34
	s_mov_b32 s51, 0x3fe58eea
	;; [unrolled: 1-line block ×3, first 2 shown]
	v_lshlrev_b32_e32 v1, 4, v1
	v_lshlrev_b32_e32 v2, 4, v147
	s_mov_b32 s57, 0x3fe9895b
	s_mov_b32 s56, s30
	;; [unrolled: 1-line block ×3, first 2 shown]
	v_add_nc_u32_e32 v148, 0, v1
	v_add3_u32 v145, 0, v2, v1
	s_mov_b32 s58, s42
	v_add_nc_u32_e32 v146, v148, v2
	ds_read_b128 v[5:8], v145 offset:272
	ds_read_b128 v[1:4], v146
	ds_read_b128 v[29:32], v145 offset:544
	ds_read_b128 v[25:28], v145 offset:816
	s_waitcnt lgkmcnt(2)
	v_add_f64 v[9:10], v[1:2], v[5:6]
	v_add_f64 v[11:12], v[3:4], v[7:8]
	s_waitcnt lgkmcnt(1)
	v_add_f64 v[9:10], v[9:10], v[29:30]
	v_add_f64 v[11:12], v[11:12], v[31:32]
	;; [unrolled: 3-line block ×3, first 2 shown]
	ds_read_b128 v[21:24], v145 offset:1088
	ds_read_b128 v[9:12], v145 offset:1360
	s_waitcnt lgkmcnt(1)
	v_add_f64 v[13:14], v[13:14], v[21:22]
	v_add_f64 v[15:16], v[15:16], v[23:24]
	s_waitcnt lgkmcnt(0)
	v_add_f64 v[33:34], v[13:14], v[9:10]
	v_add_f64 v[35:36], v[15:16], v[11:12]
	ds_read_b128 v[13:16], v145 offset:1632
	ds_read_b128 v[17:20], v145 offset:1904
	s_waitcnt lgkmcnt(1)
	v_add_f64 v[37:38], v[33:34], v[13:14]
	v_add_f64 v[39:40], v[35:36], v[15:16]
	ds_read_b128 v[33:36], v145 offset:4352
	s_waitcnt lgkmcnt(0)
	v_add_f64 v[63:64], v[7:8], -v[35:36]
	v_add_f64 v[45:46], v[37:38], v[17:18]
	v_add_f64 v[47:48], v[39:40], v[19:20]
	ds_read_b128 v[37:40], v145 offset:2176
	ds_read_b128 v[109:112], v145 offset:4080
	v_add_f64 v[69:70], v[5:6], -v[33:34]
	ds_read_b128 v[41:44], v145 offset:2448
	v_add_f64 v[113:114], v[5:6], v[33:34]
	v_add_f64 v[115:116], v[7:8], v[35:36]
	ds_read_b128 v[5:8], v145 offset:2720
	ds_read_b128 v[105:108], v145 offset:3808
	;; [unrolled: 1-line block ×5, first 2 shown]
	s_waitcnt lgkmcnt(0)
	s_barrier
	buffer_gl0_inv
	v_mul_f64 v[117:118], v[63:64], s[16:17]
	v_add_f64 v[45:46], v[45:46], v[37:38]
	v_add_f64 v[47:48], v[47:48], v[39:40]
	v_add_f64 v[101:102], v[29:30], -v[109:110]
	v_add_f64 v[103:104], v[31:32], -v[111:112]
	v_mul_f64 v[119:120], v[69:70], s[16:17]
	v_add_f64 v[85:86], v[29:30], v[109:110]
	v_add_f64 v[65:66], v[25:26], -v[105:106]
	v_add_f64 v[79:80], v[27:28], -v[107:108]
	v_add_f64 v[55:56], v[31:32], v[111:112]
	v_add_f64 v[53:54], v[21:22], -v[97:98]
	v_add_f64 v[57:58], v[23:24], -v[99:100]
	;; [unrolled: 1-line block ×4, first 2 shown]
	v_mul_f64 v[135:136], v[69:70], s[42:43]
	v_mul_f64 v[137:138], v[69:70], s[26:27]
	;; [unrolled: 1-line block ×5, first 2 shown]
	v_fma_f64 v[29:30], v[113:114], s[14:15], -v[117:118]
	v_add_f64 v[45:46], v[45:46], v[41:42]
	v_add_f64 v[47:48], v[47:48], v[43:44]
	v_mul_f64 v[59:60], v[101:102], s[40:41]
	v_mul_f64 v[89:90], v[103:104], s[40:41]
	v_fma_f64 v[31:32], v[115:116], s[14:15], v[119:120]
	v_mul_f64 v[149:150], v[103:104], s[42:43]
	v_mul_f64 v[61:62], v[65:66], s[44:45]
	;; [unrolled: 1-line block ×9, first 2 shown]
	v_fma_f64 v[117:118], v[113:114], s[14:15], v[117:118]
	v_mul_f64 v[165:166], v[77:78], s[54:55]
	v_mul_f64 v[167:168], v[75:76], s[54:55]
	v_fma_f64 v[189:190], v[115:116], s[38:39], v[141:142]
	v_fma_f64 v[141:142], v[115:116], s[38:39], -v[141:142]
	v_fma_f64 v[185:186], v[115:116], s[22:23], v[139:140]
	v_fma_f64 v[187:188], v[115:116], s[22:23], -v[139:140]
	v_add_f64 v[95:96], v[1:2], v[29:30]
	v_add_f64 v[49:50], v[45:46], v[5:6]
	;; [unrolled: 1-line block ×5, first 2 shown]
	v_fma_f64 v[87:88], v[85:86], s[10:11], -v[89:90]
	v_fma_f64 v[121:122], v[55:56], s[10:11], v[59:60]
	v_add_f64 v[123:124], v[3:4], v[31:32]
	v_add_f64 v[25:26], v[37:38], v[41:42]
	;; [unrolled: 1-line block ×3, first 2 shown]
	v_add_f64 v[37:38], v[37:38], -v[41:42]
	v_add_f64 v[39:40], v[39:40], -v[43:44]
	v_add_f64 v[29:30], v[17:18], v[5:6]
	v_add_f64 v[31:32], v[19:20], v[7:8]
	v_add_f64 v[41:42], v[17:18], -v[5:6]
	v_add_f64 v[43:44], v[19:20], -v[7:8]
	v_mul_f64 v[19:20], v[69:70], s[40:41]
	v_mul_f64 v[17:18], v[63:64], s[30:31]
	v_fma_f64 v[171:172], v[85:86], s[20:21], -v[149:150]
	v_fma_f64 v[173:174], v[55:56], s[20:21], v[151:152]
	v_fma_f64 v[191:192], v[115:116], s[28:29], v[143:144]
	v_fma_f64 v[193:194], v[115:116], s[28:29], -v[143:144]
	v_fma_f64 v[149:150], v[85:86], s[20:21], v[149:150]
	v_add_f64 v[125:126], v[49:50], v[91:92]
	v_add_f64 v[127:128], v[51:52], v[93:94]
	;; [unrolled: 1-line block ×4, first 2 shown]
	v_fma_f64 v[129:130], v[45:46], s[12:13], -v[67:68]
	v_add_f64 v[131:132], v[87:88], v[95:96]
	v_fma_f64 v[133:134], v[47:48], s[12:13], v[61:62]
	v_add_f64 v[121:122], v[121:122], v[123:124]
	v_add_f64 v[21:22], v[13:14], v[91:92]
	;; [unrolled: 1-line block ×3, first 2 shown]
	v_add_f64 v[87:88], v[13:14], -v[91:92]
	v_add_f64 v[95:96], v[15:16], -v[93:94]
	v_mul_f64 v[91:92], v[77:78], s[26:27]
	v_mul_f64 v[93:94], v[75:76], s[26:27]
	;; [unrolled: 1-line block ×3, first 2 shown]
	v_fma_f64 v[155:156], v[115:116], s[10:11], v[19:20]
	v_mul_f64 v[15:16], v[63:64], s[26:27]
	v_fma_f64 v[179:180], v[113:114], s[22:23], -v[17:18]
	v_fma_f64 v[17:18], v[113:114], s[22:23], v[17:18]
	v_fma_f64 v[19:20], v[115:116], s[10:11], -v[19:20]
	v_add_f64 v[139:140], v[3:4], v[185:186]
	v_fma_f64 v[59:60], v[55:56], s[10:11], -v[59:60]
	v_add_f64 v[5:6], v[125:126], v[71:72]
	v_add_f64 v[7:8], v[127:128], v[73:74]
	;; [unrolled: 1-line block ×3, first 2 shown]
	v_mul_f64 v[9:10], v[63:64], s[40:41]
	v_add_f64 v[73:74], v[11:12], v[73:74]
	v_fma_f64 v[123:124], v[51:52], s[20:21], -v[83:84]
	v_add_f64 v[125:126], v[129:130], v[131:132]
	v_fma_f64 v[127:128], v[49:50], s[20:21], v[81:82]
	v_add_f64 v[121:122], v[133:134], v[121:122]
	v_mul_f64 v[11:12], v[63:64], s[44:45]
	v_mul_f64 v[129:130], v[63:64], s[36:37]
	v_mul_f64 v[131:132], v[63:64], s[34:35]
	v_mul_f64 v[63:64], v[43:44], s[36:37]
	v_mul_f64 v[133:134], v[69:70], s[44:45]
	v_mul_f64 v[69:70], v[41:42], s[36:37]
	v_add_f64 v[155:156], v[3:4], v[155:156]
	v_fma_f64 v[177:178], v[113:114], s[24:25], -v[15:16]
	v_fma_f64 v[15:16], v[113:114], s[24:25], v[15:16]
	v_fma_f64 v[199:200], v[51:52], s[28:29], -v[161:162]
	v_fma_f64 v[201:202], v[49:50], s[28:29], v[163:164]
	v_mul_f64 v[195:196], v[95:96], s[48:49]
	v_add_f64 v[19:20], v[3:4], v[19:20]
	v_add_f64 v[5:6], v[5:6], v[97:98]
	;; [unrolled: 1-line block ×3, first 2 shown]
	v_mul_f64 v[97:98], v[95:96], s[30:31]
	v_fma_f64 v[153:154], v[113:114], s[10:11], -v[9:10]
	v_fma_f64 v[157:158], v[71:72], s[24:25], -v[91:92]
	v_mul_f64 v[99:100], v[87:88], s[30:31]
	v_add_f64 v[123:124], v[123:124], v[125:126]
	v_fma_f64 v[125:126], v[73:74], s[24:25], v[93:94]
	v_add_f64 v[121:122], v[127:128], v[121:122]
	v_mul_f64 v[127:128], v[79:80], s[30:31]
	v_fma_f64 v[9:10], v[113:114], s[10:11], v[9:10]
	v_fma_f64 v[169:170], v[113:114], s[12:13], -v[11:12]
	v_fma_f64 v[11:12], v[113:114], s[12:13], v[11:12]
	v_fma_f64 v[181:182], v[113:114], s[28:29], -v[131:132]
	v_fma_f64 v[183:184], v[113:114], s[28:29], v[131:132]
	v_fma_f64 v[131:132], v[47:48], s[22:23], v[159:160]
	v_add_f64 v[177:178], v[1:2], v[177:178]
	v_add_f64 v[213:214], v[1:2], v[15:16]
	v_fma_f64 v[159:160], v[47:48], s[22:23], -v[159:160]
	v_fma_f64 v[161:162], v[51:52], s[28:29], v[161:162]
	v_fma_f64 v[163:164], v[49:50], s[28:29], -v[163:164]
	v_add_f64 v[5:6], v[5:6], v[105:106]
	v_add_f64 v[7:8], v[7:8], v[107:108]
	v_fma_f64 v[175:176], v[21:22], s[22:23], -v[97:98]
	v_add_f64 v[153:154], v[1:2], v[153:154]
	v_mul_f64 v[105:106], v[39:40], s[34:35]
	v_mul_f64 v[107:108], v[37:38], s[34:35]
	v_add_f64 v[123:124], v[157:158], v[123:124]
	v_fma_f64 v[157:158], v[23:24], s[22:23], v[99:100]
	v_add_f64 v[121:122], v[125:126], v[121:122]
	v_fma_f64 v[125:126], v[113:114], s[20:21], -v[13:14]
	v_fma_f64 v[13:14], v[113:114], s[20:21], v[13:14]
	v_add_f64 v[9:10], v[1:2], v[9:10]
	v_add_f64 v[207:208], v[1:2], v[11:12]
	v_fma_f64 v[11:12], v[71:72], s[38:39], -v[165:166]
	v_add_f64 v[169:170], v[1:2], v[169:170]
	v_add_f64 v[5:6], v[5:6], v[109:110]
	;; [unrolled: 1-line block ×3, first 2 shown]
	v_fma_f64 v[109:110], v[113:114], s[38:39], -v[129:130]
	v_fma_f64 v[111:112], v[113:114], s[38:39], v[129:130]
	v_fma_f64 v[113:114], v[115:116], s[14:15], -v[119:120]
	v_fma_f64 v[119:120], v[45:46], s[22:23], -v[127:128]
	v_add_f64 v[129:130], v[171:172], v[153:154]
	v_add_f64 v[153:154], v[173:174], v[155:156]
	v_fma_f64 v[155:156], v[29:30], s[38:39], -v[63:64]
	v_add_f64 v[123:124], v[175:176], v[123:124]
	v_fma_f64 v[171:172], v[31:32], s[38:39], v[69:70]
	v_add_f64 v[121:122], v[157:158], v[121:122]
	v_fma_f64 v[175:176], v[115:116], s[24:25], v[137:138]
	v_fma_f64 v[137:138], v[115:116], s[24:25], -v[137:138]
	v_fma_f64 v[203:204], v[25:26], s[28:29], -v[105:106]
	v_add_f64 v[209:210], v[1:2], v[125:126]
	v_add_f64 v[211:212], v[1:2], v[13:14]
	v_mul_f64 v[13:14], v[87:88], s[48:49]
	v_fma_f64 v[157:158], v[115:116], s[12:13], v[133:134]
	v_fma_f64 v[133:134], v[115:116], s[12:13], -v[133:134]
	v_fma_f64 v[173:174], v[115:116], s[20:21], v[135:136]
	v_fma_f64 v[135:136], v[115:116], s[20:21], -v[135:136]
	v_add_f64 v[115:116], v[1:2], v[181:182]
	v_add_f64 v[7:8], v[7:8], v[35:36]
	v_add_f64 v[35:36], v[1:2], v[117:118]
	v_add_f64 v[117:118], v[3:4], v[141:142]
	v_mul_f64 v[141:142], v[43:44], s[46:47]
	v_fma_f64 v[205:206], v[27:28], s[28:29], v[107:108]
	v_add_f64 v[197:198], v[119:120], v[129:130]
	v_add_f64 v[153:154], v[131:132], v[153:154]
	;; [unrolled: 1-line block ×4, first 2 shown]
	v_fma_f64 v[17:18], v[73:74], s[38:39], v[167:168]
	v_add_f64 v[171:172], v[171:172], v[121:122]
	v_add_f64 v[121:122], v[1:2], v[109:110]
	;; [unrolled: 1-line block ×7, first 2 shown]
	v_fma_f64 v[127:128], v[45:46], s[22:23], v[127:128]
	v_add_f64 v[5:6], v[5:6], v[33:34]
	v_add_f64 v[33:34], v[3:4], v[113:114]
	;; [unrolled: 1-line block ×7, first 2 shown]
	v_fma_f64 v[149:150], v[29:30], s[12:13], -v[141:142]
	v_add_f64 v[129:130], v[3:4], v[187:188]
	v_add_f64 v[15:16], v[199:200], v[197:198]
	;; [unrolled: 1-line block ×3, first 2 shown]
	v_mul_f64 v[153:154], v[41:42], s[46:47]
	v_add_f64 v[1:2], v[203:204], v[155:156]
	v_fma_f64 v[155:156], v[21:22], s[24:25], -v[195:196]
	v_add_f64 v[123:124], v[3:4], v[189:190]
	v_add_f64 v[113:114], v[3:4], v[191:192]
	;; [unrolled: 1-line block ×4, first 2 shown]
	v_mul_f64 v[171:172], v[103:104], s[30:31]
	v_fma_f64 v[141:142], v[29:30], s[12:13], v[141:142]
	v_mul_f64 v[179:180], v[95:96], s[16:17]
	v_add_f64 v[127:128], v[127:128], v[9:10]
	v_add_f64 v[33:34], v[59:60], v[33:34]
	;; [unrolled: 1-line block ×3, first 2 shown]
	v_fma_f64 v[15:16], v[23:24], s[24:25], v[13:14]
	v_add_f64 v[17:18], v[17:18], v[125:126]
	v_fma_f64 v[125:126], v[55:56], s[20:21], -v[151:152]
	v_mul_f64 v[151:152], v[39:40], s[52:53]
	v_fma_f64 v[13:14], v[23:24], s[24:25], -v[13:14]
	v_fma_f64 v[183:184], v[21:22], s[14:15], -v[179:180]
	v_add_f64 v[127:128], v[161:162], v[127:128]
	v_fma_f64 v[161:162], v[71:72], s[38:39], v[165:166]
	v_fma_f64 v[165:166], v[73:74], s[38:39], -v[167:168]
	v_fma_f64 v[179:180], v[21:22], s[14:15], v[179:180]
	v_add_f64 v[11:12], v[155:156], v[11:12]
	v_fma_f64 v[155:156], v[31:32], s[12:13], v[153:154]
	v_add_f64 v[15:16], v[15:16], v[17:18]
	v_mul_f64 v[17:18], v[37:38], s[52:53]
	v_add_f64 v[19:20], v[125:126], v[19:20]
	v_fma_f64 v[125:126], v[25:26], s[14:15], -v[151:152]
	v_fma_f64 v[153:154], v[31:32], s[12:13], -v[153:154]
	v_fma_f64 v[151:152], v[25:26], s[14:15], v[151:152]
	v_add_f64 v[127:128], v[161:162], v[127:128]
	v_mul_f64 v[161:162], v[53:54], s[48:49]
	v_add_f64 v[11:12], v[149:150], v[11:12]
	v_add_f64 v[15:16], v[155:156], v[15:16]
	v_fma_f64 v[149:150], v[27:28], s[14:15], v[17:18]
	v_mul_f64 v[155:156], v[101:102], s[30:31]
	v_add_f64 v[19:20], v[159:160], v[19:20]
	v_mul_f64 v[159:160], v[79:80], s[60:61]
	v_fma_f64 v[17:18], v[27:28], s[14:15], -v[17:18]
	v_add_f64 v[9:10], v[125:126], v[11:12]
	v_add_f64 v[11:12], v[149:150], v[15:16]
	v_fma_f64 v[15:16], v[85:86], s[22:23], -v[171:172]
	v_fma_f64 v[125:126], v[55:56], s[22:23], v[155:156]
	v_mul_f64 v[149:150], v[65:66], s[60:61]
	v_add_f64 v[19:20], v[163:164], v[19:20]
	v_mul_f64 v[163:164], v[57:58], s[48:49]
	v_fma_f64 v[167:168], v[45:46], s[28:29], -v[159:160]
	v_fma_f64 v[155:156], v[55:56], s[22:23], -v[155:156]
	v_fma_f64 v[159:160], v[45:46], s[28:29], v[159:160]
	v_add_f64 v[15:16], v[15:16], v[169:170]
	v_add_f64 v[125:126], v[125:126], v[157:158]
	v_fma_f64 v[157:158], v[47:48], s[28:29], v[149:150]
	v_fma_f64 v[169:170], v[21:22], s[24:25], v[195:196]
	v_add_f64 v[19:20], v[165:166], v[19:20]
	v_mul_f64 v[165:166], v[77:78], s[50:51]
	v_add_f64 v[133:134], v[155:156], v[133:134]
	v_mul_f64 v[155:156], v[101:102], s[34:35]
	v_fma_f64 v[149:150], v[47:48], s[28:29], -v[149:150]
	v_add_f64 v[15:16], v[167:168], v[15:16]
	v_fma_f64 v[167:168], v[51:52], s[24:25], -v[163:164]
	v_add_f64 v[125:126], v[157:158], v[125:126]
	v_fma_f64 v[157:158], v[49:50], s[24:25], v[161:162]
	v_add_f64 v[127:128], v[169:170], v[127:128]
	v_mul_f64 v[169:170], v[75:76], s[50:51]
	v_add_f64 v[13:14], v[13:14], v[19:20]
	v_fma_f64 v[163:164], v[51:52], s[24:25], v[163:164]
	v_add_f64 v[133:134], v[149:150], v[133:134]
	v_fma_f64 v[161:162], v[49:50], s[24:25], -v[161:162]
	v_add_f64 v[15:16], v[167:168], v[15:16]
	v_mul_f64 v[167:168], v[87:88], s[16:17]
	v_add_f64 v[19:20], v[157:158], v[125:126]
	v_fma_f64 v[125:126], v[71:72], s[10:11], -v[165:166]
	v_add_f64 v[127:128], v[141:142], v[127:128]
	v_fma_f64 v[141:142], v[73:74], s[10:11], v[169:170]
	v_add_f64 v[153:154], v[153:154], v[13:14]
	v_mul_f64 v[157:158], v[43:44], s[42:43]
	v_add_f64 v[133:134], v[161:162], v[133:134]
	v_fma_f64 v[165:166], v[71:72], s[10:11], v[165:166]
	v_fma_f64 v[169:170], v[73:74], s[10:11], -v[169:170]
	v_add_f64 v[181:182], v[125:126], v[15:16]
	v_add_f64 v[13:14], v[151:152], v[127:128]
	;; [unrolled: 1-line block ×3, first 2 shown]
	v_fma_f64 v[141:142], v[23:24], s[14:15], v[167:168]
	v_add_f64 v[15:16], v[17:18], v[153:154]
	v_mul_f64 v[151:152], v[41:42], s[42:43]
	v_fma_f64 v[127:128], v[29:30], s[20:21], -v[157:158]
	v_mul_f64 v[125:126], v[39:40], s[36:37]
	v_fma_f64 v[167:168], v[23:24], s[14:15], -v[167:168]
	v_add_f64 v[133:134], v[169:170], v[133:134]
	v_fma_f64 v[157:158], v[29:30], s[20:21], v[157:158]
	v_add_f64 v[17:18], v[183:184], v[181:182]
	v_fma_f64 v[181:182], v[55:56], s[28:29], v[155:156]
	v_mul_f64 v[183:184], v[65:66], s[48:49]
	v_add_f64 v[19:20], v[141:142], v[19:20]
	v_fma_f64 v[155:156], v[55:56], s[28:29], -v[155:156]
	v_fma_f64 v[141:142], v[31:32], s[20:21], v[151:152]
	v_fma_f64 v[151:152], v[31:32], s[20:21], -v[151:152]
	v_fma_f64 v[153:154], v[25:26], s[38:39], -v[125:126]
	v_fma_f64 v[125:126], v[25:26], s[38:39], v[125:126]
	v_add_f64 v[133:134], v[167:168], v[133:134]
	v_add_f64 v[17:18], v[127:128], v[17:18]
	v_mul_f64 v[127:128], v[37:38], s[36:37]
	v_add_f64 v[173:174], v[181:182], v[173:174]
	v_mul_f64 v[181:182], v[79:80], s[48:49]
	v_fma_f64 v[149:150], v[47:48], s[24:25], v[183:184]
	v_add_f64 v[19:20], v[141:142], v[19:20]
	v_add_f64 v[135:136], v[155:156], v[135:136]
	v_fma_f64 v[155:156], v[47:48], s[24:25], -v[183:184]
	v_mul_f64 v[183:184], v[103:104], s[54:55]
	v_add_f64 v[133:134], v[151:152], v[133:134]
	v_add_f64 v[17:18], v[153:154], v[17:18]
	v_fma_f64 v[141:142], v[27:28], s[38:39], v[127:128]
	v_mul_f64 v[153:154], v[103:104], s[34:35]
	v_fma_f64 v[127:128], v[27:28], s[38:39], -v[127:128]
	v_add_f64 v[149:150], v[149:150], v[173:174]
	v_mul_f64 v[173:174], v[53:54], s[52:53]
	v_add_f64 v[135:136], v[155:156], v[135:136]
	v_add_f64 v[19:20], v[141:142], v[19:20]
	v_fma_f64 v[141:142], v[85:86], s[22:23], v[171:172]
	v_fma_f64 v[171:172], v[85:86], s[28:29], -v[153:154]
	v_fma_f64 v[153:154], v[85:86], s[28:29], v[153:154]
	v_fma_f64 v[161:162], v[49:50], s[14:15], v[173:174]
	v_fma_f64 v[155:156], v[49:50], s[14:15], -v[173:174]
	v_mul_f64 v[173:174], v[79:80], s[50:51]
	v_add_f64 v[141:142], v[141:142], v[207:208]
	v_add_f64 v[171:172], v[171:172], v[209:210]
	v_add_f64 v[153:154], v[153:154], v[211:212]
	v_add_f64 v[149:150], v[161:162], v[149:150]
	v_mul_f64 v[161:162], v[75:76], s[44:45]
	v_add_f64 v[155:156], v[155:156], v[135:136]
	v_add_f64 v[141:142], v[159:160], v[141:142]
	v_fma_f64 v[159:160], v[45:46], s[24:25], -v[181:182]
	v_fma_f64 v[181:182], v[45:46], s[24:25], v[181:182]
	v_fma_f64 v[169:170], v[73:74], s[12:13], v[161:162]
	v_fma_f64 v[161:162], v[73:74], s[12:13], -v[161:162]
	v_add_f64 v[141:142], v[163:164], v[141:142]
	v_add_f64 v[159:160], v[159:160], v[171:172]
	v_mul_f64 v[171:172], v[57:58], s[52:53]
	v_add_f64 v[153:154], v[181:182], v[153:154]
	v_add_f64 v[149:150], v[169:170], v[149:150]
	v_mul_f64 v[181:182], v[43:44], s[56:57]
	v_add_f64 v[155:156], v[161:162], v[155:156]
	v_fma_f64 v[161:162], v[85:86], s[38:39], v[183:184]
	v_add_f64 v[141:142], v[165:166], v[141:142]
	v_fma_f64 v[163:164], v[51:52], s[14:15], -v[171:172]
	v_fma_f64 v[171:172], v[51:52], s[14:15], v[171:172]
	v_add_f64 v[161:162], v[161:162], v[213:214]
	v_add_f64 v[141:142], v[179:180], v[141:142]
	v_mul_f64 v[179:180], v[87:88], s[36:37]
	v_add_f64 v[159:160], v[163:164], v[159:160]
	v_mul_f64 v[163:164], v[77:78], s[44:45]
	;; [unrolled: 2-line block ×3, first 2 shown]
	v_add_f64 v[141:142], v[157:158], v[141:142]
	v_fma_f64 v[169:170], v[23:24], s[38:39], v[179:180]
	v_mul_f64 v[157:158], v[41:42], s[56:57]
	v_fma_f64 v[165:166], v[71:72], s[12:13], -v[163:164]
	v_fma_f64 v[163:164], v[71:72], s[12:13], v[163:164]
	v_add_f64 v[149:150], v[169:170], v[149:150]
	v_fma_f64 v[169:170], v[85:86], s[38:39], -v[183:184]
	v_add_f64 v[159:160], v[165:166], v[159:160]
	v_mul_f64 v[165:166], v[95:96], s[36:37]
	v_fma_f64 v[135:136], v[31:32], s[22:23], v[157:158]
	v_add_f64 v[153:154], v[163:164], v[153:154]
	v_fma_f64 v[163:164], v[55:56], s[38:39], v[171:172]
	v_mul_f64 v[183:184], v[77:78], s[34:35]
	v_fma_f64 v[171:172], v[55:56], s[38:39], -v[171:172]
	v_fma_f64 v[157:158], v[31:32], s[22:23], -v[157:158]
	;; [unrolled: 1-line block ×3, first 2 shown]
	v_add_f64 v[135:136], v[135:136], v[149:150]
	v_fma_f64 v[165:166], v[21:22], s[38:39], v[165:166]
	v_add_f64 v[149:150], v[163:164], v[175:176]
	v_mul_f64 v[175:176], v[53:54], s[44:45]
	v_fma_f64 v[185:186], v[71:72], s[28:29], -v[183:184]
	v_add_f64 v[143:144], v[171:172], v[143:144]
	v_mul_f64 v[171:172], v[95:96], s[58:59]
	v_fma_f64 v[183:184], v[71:72], s[28:29], v[183:184]
	v_add_f64 v[159:160], v[167:168], v[159:160]
	v_fma_f64 v[167:168], v[29:30], s[22:23], -v[181:182]
	v_add_f64 v[153:154], v[165:166], v[153:154]
	v_fma_f64 v[165:166], v[23:24], s[38:39], -v[179:180]
	v_mul_f64 v[179:180], v[87:88], s[58:59]
	v_fma_f64 v[181:182], v[29:30], s[22:23], v[181:182]
	v_add_f64 v[151:152], v[167:168], v[159:160]
	v_add_f64 v[159:160], v[169:170], v[177:178]
	v_fma_f64 v[167:168], v[45:46], s[10:11], -v[173:174]
	v_mul_f64 v[169:170], v[65:66], s[50:51]
	v_mul_f64 v[177:178], v[57:58], s[44:45]
	v_fma_f64 v[173:174], v[45:46], s[10:11], v[173:174]
	v_add_f64 v[155:156], v[165:166], v[155:156]
	v_mul_f64 v[165:166], v[103:104], s[48:49]
	v_add_f64 v[153:154], v[181:182], v[153:154]
	v_mul_f64 v[181:182], v[41:42], s[16:17]
	v_add_f64 v[159:160], v[167:168], v[159:160]
	v_fma_f64 v[163:164], v[47:48], s[10:11], v[169:170]
	v_fma_f64 v[167:168], v[51:52], s[12:13], -v[177:178]
	v_fma_f64 v[169:170], v[47:48], s[10:11], -v[169:170]
	v_add_f64 v[161:162], v[173:174], v[161:162]
	v_mul_f64 v[173:174], v[43:44], s[16:17]
	v_add_f64 v[149:150], v[163:164], v[149:150]
	v_add_f64 v[159:160], v[167:168], v[159:160]
	v_fma_f64 v[163:164], v[49:50], s[12:13], v[175:176]
	v_mul_f64 v[167:168], v[75:76], s[34:35]
	v_add_f64 v[143:144], v[169:170], v[143:144]
	v_fma_f64 v[169:170], v[51:52], s[12:13], v[177:178]
	v_fma_f64 v[175:176], v[49:50], s[12:13], -v[175:176]
	v_mul_f64 v[177:178], v[101:102], s[48:49]
	v_add_f64 v[159:160], v[185:186], v[159:160]
	v_add_f64 v[149:150], v[163:164], v[149:150]
	v_fma_f64 v[163:164], v[73:74], s[28:29], v[167:168]
	v_fma_f64 v[185:186], v[21:22], s[20:21], -v[171:172]
	v_add_f64 v[161:162], v[169:170], v[161:162]
	v_fma_f64 v[169:170], v[29:30], s[14:15], -v[173:174]
	v_add_f64 v[175:176], v[175:176], v[143:144]
	;; [unrolled: 2-line block ×3, first 2 shown]
	v_fma_f64 v[155:156], v[85:86], s[24:25], -v[165:166]
	v_fma_f64 v[157:158], v[55:56], s[24:25], v[177:178]
	v_fma_f64 v[171:172], v[21:22], s[20:21], v[171:172]
	;; [unrolled: 1-line block ×3, first 2 shown]
	v_fma_f64 v[177:178], v[55:56], s[24:25], -v[177:178]
	v_fma_f64 v[173:174], v[29:30], s[14:15], v[173:174]
	v_add_f64 v[149:150], v[163:164], v[149:150]
	v_fma_f64 v[163:164], v[23:24], s[20:21], v[179:180]
	v_add_f64 v[159:160], v[185:186], v[159:160]
	v_mul_f64 v[185:186], v[65:66], s[16:17]
	v_add_f64 v[161:162], v[183:184], v[161:162]
	v_add_f64 v[167:168], v[167:168], v[175:176]
	v_mul_f64 v[175:176], v[57:58], s[36:37]
	v_add_f64 v[137:138], v[155:156], v[137:138]
	v_add_f64 v[139:140], v[157:158], v[139:140]
	v_mul_f64 v[183:184], v[53:54], s[36:37]
	v_fma_f64 v[179:180], v[23:24], s[20:21], -v[179:180]
	v_add_f64 v[131:132], v[165:166], v[131:132]
	v_add_f64 v[129:130], v[177:178], v[129:130]
	v_mul_f64 v[177:178], v[87:88], s[40:41]
	v_add_f64 v[149:150], v[163:164], v[149:150]
	v_mul_f64 v[163:164], v[79:80], s[16:17]
	v_add_f64 v[159:160], v[169:170], v[159:160]
	v_fma_f64 v[169:170], v[31:32], s[14:15], v[181:182]
	v_fma_f64 v[157:158], v[47:48], s[14:15], v[185:186]
	v_add_f64 v[161:162], v[171:172], v[161:162]
	v_mul_f64 v[171:172], v[75:76], s[58:59]
	v_fma_f64 v[185:186], v[47:48], s[14:15], -v[185:186]
	v_add_f64 v[167:168], v[179:180], v[167:168]
	v_mul_f64 v[179:180], v[43:44], s[34:35]
	v_fma_f64 v[155:156], v[45:46], s[14:15], -v[163:164]
	v_fma_f64 v[163:164], v[45:46], s[14:15], v[163:164]
	v_add_f64 v[149:150], v[169:170], v[149:150]
	v_add_f64 v[139:140], v[157:158], v[139:140]
	v_fma_f64 v[157:158], v[49:50], s[38:39], v[183:184]
	v_mul_f64 v[169:170], v[77:78], s[58:59]
	v_fma_f64 v[165:166], v[73:74], s[20:21], v[171:172]
	v_add_f64 v[129:130], v[185:186], v[129:130]
	v_mul_f64 v[185:186], v[101:102], s[46:47]
	v_add_f64 v[161:162], v[173:174], v[161:162]
	v_mul_f64 v[173:174], v[41:42], s[34:35]
	v_mul_f64 v[101:102], v[101:102], s[52:53]
	v_fma_f64 v[171:172], v[73:74], s[20:21], -v[171:172]
	v_add_f64 v[137:138], v[155:156], v[137:138]
	v_fma_f64 v[155:156], v[51:52], s[38:39], -v[175:176]
	v_add_f64 v[131:132], v[163:164], v[131:132]
	v_fma_f64 v[163:164], v[51:52], s[38:39], v[175:176]
	v_add_f64 v[139:140], v[157:158], v[139:140]
	v_mul_f64 v[157:158], v[95:96], s[40:41]
	v_fma_f64 v[175:176], v[49:50], s[38:39], -v[183:184]
	v_mul_f64 v[183:184], v[103:104], s[46:47]
	v_mul_f64 v[103:104], v[103:104], s[52:53]
	v_add_f64 v[137:138], v[155:156], v[137:138]
	v_fma_f64 v[155:156], v[71:72], s[20:21], -v[169:170]
	v_add_f64 v[131:132], v[163:164], v[131:132]
	v_add_f64 v[139:140], v[165:166], v[139:140]
	v_fma_f64 v[165:166], v[23:24], s[10:11], v[177:178]
	v_fma_f64 v[163:164], v[31:32], s[28:29], v[173:174]
	v_add_f64 v[129:130], v[175:176], v[129:130]
	v_mul_f64 v[175:176], v[79:80], s[42:43]
	v_mul_f64 v[79:80], v[79:80], s[36:37]
	v_add_f64 v[137:138], v[155:156], v[137:138]
	v_fma_f64 v[155:156], v[21:22], s[10:11], -v[157:158]
	v_fma_f64 v[157:158], v[21:22], s[10:11], v[157:158]
	v_add_f64 v[139:140], v[165:166], v[139:140]
	v_fma_f64 v[165:166], v[71:72], s[20:21], v[169:170]
	v_fma_f64 v[169:170], v[55:56], s[12:13], v[185:186]
	v_fma_f64 v[185:186], v[55:56], s[12:13], -v[185:186]
	v_add_f64 v[129:130], v[171:172], v[129:130]
	v_mul_f64 v[171:172], v[39:40], s[50:51]
	v_add_f64 v[137:138], v[155:156], v[137:138]
	v_fma_f64 v[155:156], v[31:32], s[14:15], -v[181:182]
	v_fma_f64 v[181:182], v[29:30], s[28:29], -v[179:180]
	v_add_f64 v[131:132], v[165:166], v[131:132]
	v_add_f64 v[123:124], v[169:170], v[123:124]
	v_mul_f64 v[169:170], v[53:54], s[56:57]
	v_add_f64 v[139:140], v[163:164], v[139:140]
	v_fma_f64 v[163:164], v[45:46], s[20:21], -v[175:176]
	v_fma_f64 v[175:176], v[45:46], s[20:21], v[175:176]
	v_mul_f64 v[53:54], v[53:54], s[50:51]
	v_add_f64 v[117:118], v[185:186], v[117:118]
	v_add_f64 v[155:156], v[155:156], v[167:168]
	;; [unrolled: 1-line block ×3, first 2 shown]
	v_fma_f64 v[167:168], v[85:86], s[12:13], -v[183:184]
	v_mul_f64 v[181:182], v[65:66], s[42:43]
	v_fma_f64 v[183:184], v[85:86], s[12:13], v[183:184]
	v_mul_f64 v[65:66], v[65:66], s[36:37]
	v_add_f64 v[131:132], v[157:158], v[131:132]
	v_fma_f64 v[157:158], v[25:26], s[10:11], -v[171:172]
	v_add_f64 v[121:122], v[167:168], v[121:122]
	v_fma_f64 v[165:166], v[47:48], s[20:21], v[181:182]
	v_add_f64 v[119:120], v[183:184], v[119:120]
	v_fma_f64 v[183:184], v[85:86], s[14:15], -v[103:104]
	v_fma_f64 v[103:104], v[85:86], s[14:15], v[103:104]
	v_fma_f64 v[85:86], v[85:86], s[10:11], v[89:90]
	;; [unrolled: 1-line block ×3, first 2 shown]
	v_fma_f64 v[101:102], v[55:56], s[14:15], -v[101:102]
	v_mul_f64 v[167:168], v[57:58], s[56:57]
	v_fma_f64 v[181:182], v[47:48], s[20:21], -v[181:182]
	v_add_f64 v[55:56], v[125:126], v[141:142]
	v_fma_f64 v[125:126], v[47:48], s[38:39], v[65:66]
	v_mul_f64 v[57:58], v[57:58], s[50:51]
	v_fma_f64 v[65:66], v[47:48], s[38:39], -v[65:66]
	v_fma_f64 v[47:48], v[47:48], s[12:13], -v[61:62]
	v_fma_f64 v[141:142], v[25:26], s[10:11], v[171:172]
	v_add_f64 v[121:122], v[163:164], v[121:122]
	v_add_f64 v[123:124], v[165:166], v[123:124]
	v_fma_f64 v[165:166], v[49:50], s[22:23], v[169:170]
	v_add_f64 v[115:116], v[183:184], v[115:116]
	v_add_f64 v[103:104], v[103:104], v[111:112]
	v_fma_f64 v[111:112], v[45:46], s[38:39], -v[79:80]
	v_add_f64 v[89:90], v[89:90], v[113:114]
	v_add_f64 v[101:102], v[101:102], v[109:110]
	v_mul_f64 v[109:110], v[75:76], s[16:17]
	v_add_f64 v[85:86], v[85:86], v[35:36]
	v_fma_f64 v[79:80], v[45:46], s[38:39], v[79:80]
	v_fma_f64 v[45:46], v[45:46], s[12:13], v[67:68]
	v_fma_f64 v[163:164], v[51:52], s[22:23], -v[167:168]
	v_add_f64 v[119:120], v[175:176], v[119:120]
	v_mul_f64 v[113:114], v[77:78], s[16:17]
	v_fma_f64 v[167:168], v[51:52], s[22:23], v[167:168]
	v_fma_f64 v[169:170], v[49:50], s[22:23], -v[169:170]
	v_mul_f64 v[77:78], v[77:78], s[30:31]
	v_mul_f64 v[75:76], v[75:76], s[30:31]
	v_add_f64 v[33:34], v[47:48], v[33:34]
	v_add_f64 v[117:118], v[181:182], v[117:118]
	;; [unrolled: 1-line block ×3, first 2 shown]
	v_mul_f64 v[47:48], v[87:88], s[34:35]
	v_mul_f64 v[87:88], v[87:88], s[46:47]
	v_add_f64 v[123:124], v[165:166], v[123:124]
	v_mul_f64 v[165:166], v[39:40], s[30:31]
	v_mul_f64 v[175:176], v[37:38], s[30:31]
	v_add_f64 v[111:112], v[111:112], v[115:116]
	v_add_f64 v[89:90], v[125:126], v[89:90]
	v_fma_f64 v[125:126], v[51:52], s[10:11], -v[57:58]
	v_fma_f64 v[115:116], v[73:74], s[14:15], v[109:110]
	v_add_f64 v[65:66], v[65:66], v[101:102]
	v_add_f64 v[79:80], v[79:80], v[103:104]
	v_fma_f64 v[103:104], v[49:50], s[10:11], v[53:54]
	v_fma_f64 v[57:58], v[51:52], s[10:11], v[57:58]
	v_fma_f64 v[53:54], v[49:50], s[10:11], -v[53:54]
	v_add_f64 v[45:46], v[45:46], v[85:86]
	v_fma_f64 v[51:52], v[51:52], s[20:21], v[83:84]
	v_fma_f64 v[49:50], v[49:50], s[20:21], -v[81:82]
	v_add_f64 v[121:122], v[163:164], v[121:122]
	v_mul_f64 v[163:164], v[37:38], s[50:51]
	v_mul_f64 v[85:86], v[95:96], s[34:35]
	v_add_f64 v[119:120], v[167:168], v[119:120]
	v_mul_f64 v[95:96], v[95:96], s[46:47]
	v_add_f64 v[117:118], v[169:170], v[117:118]
	v_fma_f64 v[109:110], v[73:74], s[14:15], -v[109:110]
	v_mul_f64 v[101:102], v[39:40], s[46:47]
	v_fma_f64 v[67:68], v[25:26], s[22:23], -v[165:166]
	v_fma_f64 v[157:158], v[25:26], s[22:23], v[165:166]
	v_fma_f64 v[165:166], v[71:72], s[14:15], -v[113:114]
	v_fma_f64 v[113:114], v[71:72], s[14:15], v[113:114]
	v_add_f64 v[111:112], v[125:126], v[111:112]
	v_add_f64 v[115:116], v[115:116], v[123:124]
	v_fma_f64 v[123:124], v[73:74], s[22:23], v[75:76]
	v_fma_f64 v[75:76], v[73:74], s[22:23], -v[75:76]
	v_add_f64 v[89:90], v[103:104], v[89:90]
	v_fma_f64 v[103:104], v[71:72], s[22:23], -v[77:78]
	v_add_f64 v[57:58], v[57:58], v[79:80]
	v_add_f64 v[53:54], v[53:54], v[65:66]
	v_fma_f64 v[65:66], v[71:72], s[22:23], v[77:78]
	v_add_f64 v[45:46], v[51:52], v[45:46]
	v_add_f64 v[33:34], v[49:50], v[33:34]
	v_fma_f64 v[49:50], v[71:72], s[24:25], v[91:92]
	v_fma_f64 v[51:52], v[73:74], s[24:25], -v[93:94]
	v_fma_f64 v[59:60], v[27:28], s[10:11], v[163:164]
	v_fma_f64 v[151:152], v[27:28], s[10:11], -v[163:164]
	v_fma_f64 v[163:164], v[23:24], s[10:11], -v[177:178]
	;; [unrolled: 1-line block ×3, first 2 shown]
	v_fma_f64 v[79:80], v[23:24], s[28:29], v[47:48]
	v_mul_f64 v[125:126], v[43:44], s[50:51]
	v_mul_f64 v[91:92], v[41:42], s[50:51]
	v_add_f64 v[121:122], v[165:166], v[121:122]
	v_add_f64 v[93:94], v[113:114], v[119:120]
	v_fma_f64 v[85:86], v[21:22], s[28:29], v[85:86]
	v_fma_f64 v[47:48], v[23:24], s[28:29], -v[47:48]
	v_fma_f64 v[113:114], v[23:24], s[12:13], v[87:88]
	v_mul_f64 v[43:44], v[43:44], s[26:27]
	v_add_f64 v[89:90], v[123:124], v[89:90]
	v_add_f64 v[103:104], v[103:104], v[111:112]
	v_fma_f64 v[111:112], v[21:22], s[12:13], -v[95:96]
	v_mul_f64 v[41:42], v[41:42], s[26:27]
	v_add_f64 v[57:58], v[65:66], v[57:58]
	v_add_f64 v[53:54], v[75:76], v[53:54]
	v_fma_f64 v[65:66], v[21:22], s[12:13], v[95:96]
	v_fma_f64 v[75:76], v[23:24], s[12:13], -v[87:88]
	v_add_f64 v[45:46], v[49:50], v[45:46]
	v_add_f64 v[33:34], v[51:52], v[33:34]
	v_fma_f64 v[21:22], v[21:22], s[22:23], v[97:98]
	v_fma_f64 v[23:24], v[23:24], s[22:23], -v[99:100]
	;; [unrolled: 4-line block ×3, first 2 shown]
	v_add_f64 v[77:78], v[77:78], v[121:122]
	v_fma_f64 v[87:88], v[29:30], s[10:11], -v[125:126]
	v_fma_f64 v[49:50], v[31:32], s[10:11], v[91:92]
	v_mul_f64 v[51:52], v[39:40], s[26:27]
	v_add_f64 v[85:86], v[85:86], v[93:94]
	v_fma_f64 v[93:94], v[29:30], s[10:11], v[125:126]
	v_fma_f64 v[91:92], v[31:32], s[10:11], -v[91:92]
	v_add_f64 v[89:90], v[113:114], v[89:90]
	v_add_f64 v[97:98], v[111:112], v[103:104]
	v_fma_f64 v[99:100], v[29:30], s[24:25], -v[43:44]
	v_fma_f64 v[103:104], v[31:32], s[24:25], v[41:42]
	v_fma_f64 v[43:44], v[29:30], s[24:25], v[43:44]
	v_fma_f64 v[41:42], v[31:32], s[24:25], -v[41:42]
	v_fma_f64 v[29:30], v[29:30], s[38:39], v[63:64]
	v_fma_f64 v[31:32], v[31:32], s[38:39], -v[69:70]
	v_mul_f64 v[83:84], v[37:38], s[46:47]
	v_add_f64 v[21:22], v[21:22], v[45:46]
	v_add_f64 v[23:24], v[23:24], v[33:34]
	;; [unrolled: 1-line block ×3, first 2 shown]
	v_mul_f64 v[95:96], v[37:38], s[26:27]
	v_mul_f64 v[39:40], v[39:40], s[58:59]
	;; [unrolled: 1-line block ×3, first 2 shown]
	v_add_f64 v[47:48], v[47:48], v[109:110]
	v_add_f64 v[57:58], v[65:66], v[57:58]
	v_add_f64 v[53:54], v[75:76], v[53:54]
	v_fma_f64 v[61:62], v[27:28], s[22:23], v[175:176]
	v_fma_f64 v[65:66], v[25:26], s[12:13], -v[101:102]
	v_add_f64 v[33:34], v[73:74], v[81:82]
	v_fma_f64 v[45:46], v[25:26], s[12:13], v[101:102]
	v_add_f64 v[63:64], v[87:88], v[77:78]
	v_fma_f64 v[69:70], v[25:26], s[24:25], -v[51:52]
	v_add_f64 v[77:78], v[93:94], v[85:86]
	v_add_f64 v[81:82], v[99:100], v[97:98]
	;; [unrolled: 1-line block ×3, first 2 shown]
	v_fma_f64 v[103:104], v[25:26], s[28:29], v[105:106]
	v_fma_f64 v[105:106], v[27:28], s[28:29], -v[107:108]
	v_fma_f64 v[51:52], v[25:26], s[24:25], v[51:52]
	v_fma_f64 v[75:76], v[27:28], s[12:13], v[83:84]
	v_add_f64 v[99:100], v[29:30], v[21:22]
	v_add_f64 v[101:102], v[31:32], v[23:24]
	;; [unrolled: 1-line block ×3, first 2 shown]
	v_fma_f64 v[73:74], v[27:28], s[24:25], v[95:96]
	v_fma_f64 v[87:88], v[25:26], s[20:21], -v[39:40]
	v_fma_f64 v[89:90], v[27:28], s[20:21], v[37:38]
	v_add_f64 v[79:80], v[91:92], v[47:48]
	v_add_f64 v[57:58], v[43:44], v[57:58]
	;; [unrolled: 1-line block ×3, first 2 shown]
	v_fma_f64 v[91:92], v[25:26], s[20:21], v[39:40]
	v_fma_f64 v[93:94], v[27:28], s[20:21], -v[37:38]
	v_fma_f64 v[95:96], v[27:28], s[24:25], -v[95:96]
	v_add_f64 v[71:72], v[71:72], v[131:132]
	v_fma_f64 v[83:84], v[27:28], s[12:13], -v[83:84]
	v_fma_f64 v[97:98], v[27:28], s[22:23], -v[175:176]
	v_add_f64 v[37:38], v[59:60], v[135:136]
	v_add_f64 v[25:26], v[67:68], v[159:160]
	;; [unrolled: 1-line block ×22, first 2 shown]
	v_mad_u32_u24 v33, 0x110, v147, v148
	ds_write_b128 v33, v[5:8]
	ds_write_b128 v33, v[1:4] offset:16
	ds_write_b128 v33, v[9:12] offset:32
	;; [unrolled: 1-line block ×15, first 2 shown]
	v_lshlrev_b32_e32 v1, 8, v147
	ds_write_b128 v33, v[67:70] offset:256
	s_waitcnt lgkmcnt(0)
	s_barrier
	buffer_gl0_inv
	s_clause 0xf
	global_load_dwordx4 v[37:40], v1, s[8:9]
	global_load_dwordx4 v[53:56], v1, s[8:9] offset:16
	global_load_dwordx4 v[61:64], v1, s[8:9] offset:32
	global_load_dwordx4 v[41:44], v1, s[8:9] offset:48
	global_load_dwordx4 v[71:74], v1, s[8:9] offset:240
	global_load_dwordx4 v[75:78], v1, s[8:9] offset:64
	global_load_dwordx4 v[79:82], v1, s[8:9] offset:80
	global_load_dwordx4 v[115:118], v1, s[8:9] offset:96
	global_load_dwordx4 v[33:36], v1, s[8:9] offset:112
	global_load_dwordx4 v[29:32], v1, s[8:9] offset:224
	global_load_dwordx4 v[25:28], v1, s[8:9] offset:128
	global_load_dwordx4 v[21:24], v1, s[8:9] offset:144
	global_load_dwordx4 v[17:20], v1, s[8:9] offset:160
	global_load_dwordx4 v[13:16], v1, s[8:9] offset:176
	global_load_dwordx4 v[9:12], v1, s[8:9] offset:208
	global_load_dwordx4 v[5:8], v1, s[8:9] offset:192
	ds_read_b128 v[45:48], v145 offset:272
	ds_read_b128 v[65:68], v145 offset:544
	;; [unrolled: 1-line block ×5, first 2 shown]
	ds_read_b128 v[1:4], v146
	ds_read_b128 v[119:122], v145 offset:1360
	ds_read_b128 v[123:126], v145 offset:1632
	;; [unrolled: 1-line block ×4, first 2 shown]
	s_waitcnt vmcnt(15) lgkmcnt(9)
	v_mul_f64 v[57:58], v[47:48], v[39:40]
	v_mul_f64 v[39:40], v[45:46], v[39:40]
	s_waitcnt vmcnt(14) lgkmcnt(8)
	v_mul_f64 v[69:70], v[67:68], v[55:56]
	v_mul_f64 v[55:56], v[65:66], v[55:56]
	;; [unrolled: 3-line block ×3, first 2 shown]
	v_mul_f64 v[63:64], v[83:84], v[63:64]
	v_mul_f64 v[109:110], v[103:104], v[43:44]
	;; [unrolled: 1-line block ×3, first 2 shown]
	s_waitcnt vmcnt(10) lgkmcnt(3)
	v_mul_f64 v[131:132], v[121:122], v[77:78]
	v_mul_f64 v[77:78], v[119:120], v[77:78]
	s_waitcnt vmcnt(8) lgkmcnt(1)
	v_mul_f64 v[137:138], v[129:130], v[117:118]
	v_mul_f64 v[117:118], v[127:128], v[117:118]
	;; [unrolled: 1-line block ×5, first 2 shown]
	s_waitcnt vmcnt(7) lgkmcnt(0)
	v_mul_f64 v[139:140], v[51:52], v[35:36]
	v_mul_f64 v[35:36], v[49:50], v[35:36]
	v_fma_f64 v[99:100], v[45:46], v[37:38], -v[57:58]
	v_fma_f64 v[97:98], v[47:48], v[37:38], v[39:40]
	v_fma_f64 v[93:94], v[65:66], v[53:54], -v[69:70]
	v_fma_f64 v[95:96], v[67:68], v[53:54], v[55:56]
	v_fma_f64 v[69:70], v[107:108], v[71:72], v[111:112]
	ds_read_b128 v[57:60], v145 offset:4080
	ds_read_b128 v[45:48], v145 offset:2448
	;; [unrolled: 1-line block ×4, first 2 shown]
	v_fma_f64 v[91:92], v[83:84], v[61:62], -v[87:88]
	v_fma_f64 v[89:90], v[85:86], v[61:62], v[63:64]
	ds_read_b128 v[61:64], v145 offset:3264
	v_fma_f64 v[85:86], v[101:102], v[41:42], -v[109:110]
	v_fma_f64 v[71:72], v[105:106], v[71:72], -v[73:74]
	;; [unrolled: 1-line block ×3, first 2 shown]
	v_fma_f64 v[83:84], v[121:122], v[75:76], v[77:78]
	v_fma_f64 v[73:74], v[127:128], v[115:116], -v[137:138]
	v_fma_f64 v[75:76], v[129:130], v[115:116], v[117:118]
	v_fma_f64 v[87:88], v[103:104], v[41:42], v[43:44]
	ds_read_b128 v[41:44], v145 offset:3808
	ds_read_b128 v[53:56], v145 offset:3536
	v_fma_f64 v[77:78], v[123:124], v[79:80], -v[133:134]
	v_add_f64 v[111:112], v[1:2], v[99:100]
	v_add_f64 v[113:114], v[3:4], v[97:98]
	v_fma_f64 v[49:50], v[49:50], v[33:34], -v[139:140]
	s_waitcnt vmcnt(6) lgkmcnt(6)
	v_mul_f64 v[109:110], v[57:58], v[31:32]
	v_mul_f64 v[107:108], v[59:60], v[31:32]
	s_waitcnt vmcnt(5) lgkmcnt(5)
	v_mul_f64 v[31:32], v[47:48], v[27:28]
	v_mul_f64 v[27:28], v[45:46], v[27:28]
	;; [unrolled: 3-line block ×3, first 2 shown]
	v_mul_f64 v[103:104], v[65:66], v[23:24]
	v_add_f64 v[23:24], v[97:98], -v[69:70]
	v_fma_f64 v[119:120], v[51:52], v[33:34], v[35:36]
	v_mul_f64 v[19:20], v[37:38], v[19:20]
	v_add_f64 v[117:118], v[99:100], -v[71:72]
	s_waitcnt vmcnt(2) lgkmcnt(2)
	v_mul_f64 v[33:34], v[63:64], v[15:16]
	v_mul_f64 v[15:16], v[61:62], v[15:16]
	v_fma_f64 v[79:80], v[125:126], v[79:80], v[135:136]
	s_waitcnt vmcnt(0) lgkmcnt(0)
	s_barrier
	buffer_gl0_inv
	v_add_f64 v[115:116], v[111:112], v[93:94]
	v_add_f64 v[113:114], v[113:114], v[95:96]
	v_fma_f64 v[109:110], v[59:60], v[29:30], v[109:110]
	v_fma_f64 v[111:112], v[57:58], v[29:30], -v[107:108]
	v_mul_f64 v[29:30], v[41:42], v[11:12]
	v_fma_f64 v[121:122], v[45:46], v[25:26], -v[31:32]
	v_mul_f64 v[11:12], v[43:44], v[11:12]
	v_fma_f64 v[123:124], v[47:48], v[25:26], v[27:28]
	v_add_f64 v[47:48], v[99:100], v[71:72]
	v_fma_f64 v[99:100], v[37:38], v[17:18], -v[105:106]
	v_mul_f64 v[31:32], v[55:56], v[7:8]
	v_mul_f64 v[7:8], v[53:54], v[7:8]
	v_fma_f64 v[101:102], v[65:66], v[21:22], -v[101:102]
	v_fma_f64 v[125:126], v[67:68], v[21:22], v[103:104]
	v_mul_f64 v[21:22], v[23:24], s[16:17]
	v_mul_f64 v[25:26], v[23:24], s[40:41]
	;; [unrolled: 1-line block ×4, first 2 shown]
	v_add_f64 v[57:58], v[97:98], v[69:70]
	v_fma_f64 v[127:128], v[39:40], v[17:18], v[19:20]
	v_fma_f64 v[129:130], v[61:62], v[13:14], -v[33:34]
	v_add_f64 v[37:38], v[115:116], v[91:92]
	v_add_f64 v[45:46], v[113:114], v[89:90]
	v_fma_f64 v[13:14], v[63:64], v[13:14], v[15:16]
	v_add_f64 v[39:40], v[95:96], -v[109:110]
	v_add_f64 v[35:36], v[93:94], -v[111:112]
	v_fma_f64 v[15:16], v[43:44], v[9:10], v[29:30]
	v_mul_f64 v[17:18], v[23:24], s[42:43]
	v_fma_f64 v[9:10], v[41:42], v[9:10], -v[11:12]
	v_mul_f64 v[19:20], v[23:24], s[26:27]
	v_mul_f64 v[29:30], v[23:24], s[36:37]
	;; [unrolled: 1-line block ×3, first 2 shown]
	v_fma_f64 v[11:12], v[53:54], v[5:6], -v[31:32]
	v_fma_f64 v[5:6], v[55:56], v[5:6], v[7:8]
	v_mul_f64 v[7:8], v[23:24], s[30:31]
	v_add_f64 v[23:24], v[95:96], v[109:110]
	v_fma_f64 v[31:32], v[47:48], s[14:15], -v[21:22]
	v_fma_f64 v[53:54], v[47:48], s[10:11], -v[25:26]
	v_fma_f64 v[55:56], v[47:48], s[10:11], v[25:26]
	v_fma_f64 v[59:60], v[47:48], s[12:13], -v[27:28]
	v_fma_f64 v[43:44], v[57:58], s[14:15], v[51:52]
	v_add_f64 v[25:26], v[93:94], v[111:112]
	v_fma_f64 v[65:66], v[47:48], s[12:13], v[27:28]
	v_add_f64 v[33:34], v[37:38], v[85:86]
	v_add_f64 v[37:38], v[45:46], v[87:88]
	v_fma_f64 v[21:22], v[47:48], s[14:15], v[21:22]
	v_mul_f64 v[61:62], v[39:40], s[40:41]
	v_mul_f64 v[63:64], v[35:36], s[40:41]
	v_add_f64 v[45:46], v[89:90], -v[15:16]
	v_mul_f64 v[115:116], v[117:118], s[26:27]
	v_add_f64 v[27:28], v[91:92], -v[9:10]
	v_fma_f64 v[93:94], v[47:48], s[24:25], -v[19:20]
	v_fma_f64 v[131:132], v[47:48], s[38:39], -v[29:30]
	v_fma_f64 v[133:134], v[47:48], s[38:39], v[29:30]
	v_add_f64 v[29:30], v[91:92], v[9:10]
	v_fma_f64 v[95:96], v[47:48], s[24:25], v[19:20]
	v_mul_f64 v[19:20], v[117:118], s[40:41]
	v_mul_f64 v[103:104], v[117:118], s[44:45]
	v_add_f64 v[137:138], v[1:2], v[31:32]
	v_add_f64 v[31:32], v[89:90], v[15:16]
	v_fma_f64 v[143:144], v[47:48], s[28:29], -v[41:42]
	v_fma_f64 v[146:147], v[47:48], s[28:29], v[41:42]
	v_add_f64 v[43:44], v[3:4], v[43:44]
	v_fma_f64 v[150:151], v[57:58], s[14:15], -v[51:52]
	v_add_f64 v[41:42], v[85:86], v[11:12]
	v_add_f64 v[107:108], v[33:34], v[81:82]
	;; [unrolled: 1-line block ×3, first 2 shown]
	v_add_f64 v[33:34], v[87:88], -v[5:6]
	v_fma_f64 v[139:140], v[25:26], s[10:11], -v[61:62]
	v_fma_f64 v[141:142], v[23:24], s[10:11], v[63:64]
	v_mul_f64 v[91:92], v[45:46], s[44:45]
	v_add_f64 v[37:38], v[85:86], -v[11:12]
	v_mul_f64 v[89:90], v[27:28], s[44:45]
	v_fma_f64 v[158:159], v[57:58], s[24:25], v[115:116]
	v_fma_f64 v[160:161], v[57:58], s[24:25], -v[115:116]
	v_add_f64 v[21:22], v[1:2], v[21:22]
	v_fma_f64 v[61:62], v[25:26], s[10:11], v[61:62]
	v_fma_f64 v[67:68], v[47:48], s[20:21], -v[17:18]
	v_fma_f64 v[17:18], v[47:48], s[20:21], v[17:18]
	v_fma_f64 v[97:98], v[47:48], s[22:23], -v[7:8]
	v_fma_f64 v[7:8], v[47:48], s[22:23], v[7:8]
	v_mul_f64 v[105:106], v[117:118], s[42:43]
	v_mul_f64 v[135:136], v[117:118], s[30:31]
	;; [unrolled: 1-line block ×4, first 2 shown]
	v_fma_f64 v[152:153], v[57:58], s[10:11], v[19:20]
	v_fma_f64 v[19:20], v[57:58], s[10:11], -v[19:20]
	v_add_f64 v[107:108], v[107:108], v[77:78]
	v_add_f64 v[113:114], v[113:114], v[79:80]
	v_mul_f64 v[85:86], v[33:34], s[42:43]
	v_add_f64 v[115:116], v[139:140], v[137:138]
	v_add_f64 v[137:138], v[141:142], v[43:44]
	v_fma_f64 v[139:140], v[29:30], s[12:13], -v[91:92]
	v_fma_f64 v[154:155], v[57:58], s[12:13], v[103:104]
	v_fma_f64 v[141:142], v[31:32], s[12:13], v[89:90]
	v_fma_f64 v[103:104], v[57:58], s[12:13], -v[103:104]
	v_add_f64 v[43:44], v[87:88], v[5:6]
	v_mul_f64 v[87:88], v[37:38], s[42:43]
	v_add_f64 v[47:48], v[83:84], -v[13:14]
	v_add_f64 v[51:52], v[81:82], -v[129:130]
	v_add_f64 v[150:151], v[3:4], v[150:151]
	v_add_f64 v[170:171], v[1:2], v[55:56]
	v_fma_f64 v[63:64], v[23:24], s[10:11], -v[63:64]
	v_add_f64 v[61:62], v[61:62], v[21:22]
	v_fma_f64 v[91:92], v[29:30], s[12:13], v[91:92]
	v_add_f64 v[55:56], v[83:84], v[13:14]
	v_fma_f64 v[156:157], v[57:58], s[20:21], v[105:106]
	v_fma_f64 v[105:106], v[57:58], s[20:21], -v[105:106]
	v_fma_f64 v[162:163], v[57:58], s[22:23], v[135:136]
	v_add_f64 v[107:108], v[107:108], v[73:74]
	v_add_f64 v[113:114], v[113:114], v[75:76]
	v_fma_f64 v[135:136], v[57:58], s[22:23], -v[135:136]
	v_fma_f64 v[164:165], v[57:58], s[38:39], v[148:149]
	v_fma_f64 v[148:149], v[57:58], s[38:39], -v[148:149]
	v_add_f64 v[139:140], v[139:140], v[115:116]
	v_fma_f64 v[166:167], v[57:58], s[28:29], v[117:118]
	v_add_f64 v[137:138], v[141:142], v[137:138]
	v_fma_f64 v[141:142], v[41:42], s[20:21], -v[85:86]
	v_fma_f64 v[117:118], v[57:58], s[28:29], -v[117:118]
	v_add_f64 v[168:169], v[1:2], v[53:54]
	v_add_f64 v[172:173], v[3:4], v[19:20]
	;; [unrolled: 1-line block ×3, first 2 shown]
	v_fma_f64 v[176:177], v[43:44], s[20:21], v[87:88]
	v_add_f64 v[53:54], v[81:82], v[129:130]
	v_mul_f64 v[81:82], v[47:48], s[26:27]
	v_mul_f64 v[178:179], v[51:52], s[26:27]
	v_add_f64 v[57:58], v[79:80], -v[127:128]
	v_add_f64 v[182:183], v[3:4], v[103:104]
	v_add_f64 v[59:60], v[77:78], -v[99:100]
	v_add_f64 v[19:20], v[3:4], v[158:159]
	v_add_f64 v[103:104], v[3:4], v[160:161]
	;; [unrolled: 1-line block ×7, first 2 shown]
	v_fma_f64 v[89:90], v[31:32], s[12:13], -v[89:90]
	v_add_f64 v[91:92], v[91:92], v[61:62]
	v_fma_f64 v[150:151], v[41:42], s[20:21], v[85:86]
	v_add_f64 v[139:140], v[141:142], v[139:140]
	v_mul_f64 v[160:161], v[39:40], s[42:43]
	v_add_f64 v[180:181], v[1:2], v[65:66]
	v_add_f64 v[115:116], v[3:4], v[105:106]
	;; [unrolled: 1-line block ×5, first 2 shown]
	v_fma_f64 v[176:177], v[53:54], s[24:25], -v[81:82]
	v_fma_f64 v[186:187], v[55:56], s[24:25], v[178:179]
	v_mul_f64 v[188:189], v[35:36], s[42:43]
	v_add_f64 v[61:62], v[77:78], v[99:100]
	v_mul_f64 v[190:191], v[57:58], s[30:31]
	v_add_f64 v[63:64], v[79:80], v[127:128]
	;; [unrolled: 2-line block ×3, first 2 shown]
	v_add_f64 v[158:159], v[107:108], v[123:124]
	v_add_f64 v[65:66], v[75:76], -v[125:126]
	v_add_f64 v[97:98], v[1:2], v[7:8]
	v_add_f64 v[95:96], v[3:4], v[135:136]
	;; [unrolled: 1-line block ×4, first 2 shown]
	v_fma_f64 v[93:94], v[43:44], s[20:21], -v[87:88]
	v_add_f64 v[131:132], v[150:151], v[91:92]
	v_fma_f64 v[81:82], v[53:54], s[24:25], v[81:82]
	v_add_f64 v[87:88], v[1:2], v[133:134]
	v_mul_f64 v[150:151], v[45:46], s[30:31]
	v_add_f64 v[152:153], v[3:4], v[152:153]
	v_add_f64 v[184:185], v[1:2], v[67:68]
	;; [unrolled: 1-line block ×3, first 2 shown]
	v_add_f64 v[67:68], v[73:74], -v[101:102]
	v_add_f64 v[85:86], v[3:4], v[164:165]
	v_add_f64 v[139:140], v[176:177], v[139:140]
	v_mul_f64 v[162:163], v[27:28], s[30:31]
	v_add_f64 v[137:138], v[186:187], v[137:138]
	v_fma_f64 v[164:165], v[61:62], s[22:23], -v[190:191]
	v_fma_f64 v[176:177], v[63:64], s[22:23], v[192:193]
	v_add_f64 v[133:134], v[141:142], v[101:102]
	v_add_f64 v[135:136], v[158:159], v[125:126]
	v_fma_f64 v[141:142], v[25:26], s[20:21], -v[160:161]
	v_fma_f64 v[158:159], v[23:24], s[20:21], v[188:189]
	v_add_f64 v[73:74], v[73:74], v[101:102]
	v_mul_f64 v[101:102], v[65:66], s[36:37]
	v_add_f64 v[89:90], v[3:4], v[148:149]
	v_add_f64 v[91:92], v[1:2], v[143:144]
	v_add_f64 v[79:80], v[119:120], -v[123:124]
	v_add_f64 v[7:8], v[93:94], v[7:8]
	v_fma_f64 v[143:144], v[55:56], s[24:25], -v[178:179]
	v_add_f64 v[131:132], v[81:82], v[131:132]
	v_fma_f64 v[148:149], v[61:62], s[22:23], v[190:191]
	v_add_f64 v[75:76], v[75:76], v[125:126]
	v_add_f64 v[77:78], v[49:50], -v[121:122]
	v_mul_f64 v[125:126], v[67:68], s[36:37]
	v_add_f64 v[93:94], v[3:4], v[166:167]
	v_mul_f64 v[166:167], v[39:40], s[30:31]
	v_add_f64 v[81:82], v[49:50], v[121:122]
	v_add_f64 v[49:50], v[119:120], v[123:124]
	;; [unrolled: 1-line block ×7, first 2 shown]
	v_fma_f64 v[135:136], v[29:30], s[22:23], -v[150:151]
	v_mul_f64 v[141:142], v[33:34], s[34:35]
	v_add_f64 v[152:153], v[158:159], v[152:153]
	v_fma_f64 v[158:159], v[31:32], s[22:23], v[162:163]
	v_mul_f64 v[168:169], v[37:38], s[34:35]
	v_fma_f64 v[164:165], v[73:74], s[38:39], -v[101:102]
	v_mul_f64 v[176:177], v[35:36], s[30:31]
	v_mul_f64 v[121:122], v[79:80], s[34:35]
	v_add_f64 v[7:8], v[143:144], v[7:8]
	v_fma_f64 v[123:124], v[63:64], s[22:23], -v[192:193]
	v_add_f64 v[131:132], v[148:149], v[131:132]
	v_fma_f64 v[143:144], v[73:74], s[38:39], v[101:102]
	v_add_f64 v[154:155], v[3:4], v[154:155]
	v_add_f64 v[156:157], v[3:4], v[156:157]
	v_fma_f64 v[178:179], v[75:76], s[38:39], v[125:126]
	v_mul_f64 v[119:120], v[77:78], s[34:35]
	v_fma_f64 v[160:161], v[25:26], s[20:21], v[160:161]
	v_add_f64 v[101:102], v[1:2], v[146:147]
	v_fma_f64 v[1:2], v[25:26], s[22:23], -v[166:167]
	v_add_f64 v[129:130], v[99:100], v[129:130]
	v_add_f64 v[13:14], v[127:128], v[13:14]
	;; [unrolled: 1-line block ×4, first 2 shown]
	v_fma_f64 v[133:134], v[41:42], s[28:29], -v[141:142]
	v_mul_f64 v[135:136], v[47:48], s[54:55]
	v_add_f64 v[148:149], v[158:159], v[152:153]
	v_fma_f64 v[152:153], v[43:44], s[28:29], v[168:169]
	v_mul_f64 v[158:159], v[51:52], s[54:55]
	v_fma_f64 v[3:4], v[23:24], s[22:23], v[176:177]
	v_mul_f64 v[117:118], v[45:46], s[60:61]
	v_mul_f64 v[146:147], v[27:28], s[60:61]
	v_add_f64 v[139:140], v[164:165], v[139:140]
	v_fma_f64 v[164:165], v[81:82], s[28:29], -v[121:122]
	v_add_f64 v[7:8], v[123:124], v[7:8]
	v_fma_f64 v[123:124], v[75:76], s[38:39], -v[125:126]
	v_add_f64 v[125:126], v[143:144], v[131:132]
	v_fma_f64 v[121:122], v[81:82], s[28:29], v[121:122]
	v_mul_f64 v[131:132], v[57:58], s[48:49]
	v_add_f64 v[137:138], v[178:179], v[137:138]
	v_fma_f64 v[178:179], v[49:50], s[28:29], v[119:120]
	v_fma_f64 v[150:151], v[29:30], s[22:23], v[150:151]
	v_add_f64 v[11:12], v[129:130], v[11:12]
	v_add_f64 v[13:14], v[13:14], v[5:6]
	v_mul_f64 v[186:187], v[33:34], s[48:49]
	v_fma_f64 v[119:120], v[49:50], s[28:29], -v[119:120]
	v_add_f64 v[127:128], v[133:134], v[127:128]
	v_fma_f64 v[129:130], v[53:54], s[38:39], -v[135:136]
	v_fma_f64 v[141:142], v[41:42], s[28:29], v[141:142]
	v_add_f64 v[133:134], v[152:153], v[148:149]
	v_fma_f64 v[143:144], v[55:56], s[38:39], v[158:159]
	v_add_f64 v[148:149], v[160:161], v[170:171]
	v_fma_f64 v[152:153], v[23:24], s[20:21], -v[188:189]
	v_add_f64 v[160:161], v[1:2], v[174:175]
	v_add_f64 v[154:155], v[3:4], v[154:155]
	v_fma_f64 v[170:171], v[29:30], s[28:29], -v[117:118]
	v_fma_f64 v[174:175], v[31:32], s[28:29], v[146:147]
	v_mul_f64 v[188:189], v[37:38], s[48:49]
	v_add_f64 v[1:2], v[164:165], v[139:140]
	v_add_f64 v[7:8], v[123:124], v[7:8]
	v_fma_f64 v[123:124], v[25:26], s[22:23], v[166:167]
	v_fma_f64 v[139:140], v[23:24], s[22:23], -v[176:177]
	v_add_f64 v[5:6], v[121:122], v[125:126]
	v_fma_f64 v[121:122], v[61:62], s[24:25], -v[131:132]
	v_add_f64 v[9:10], v[11:12], v[9:10]
	v_mul_f64 v[125:126], v[65:66], s[46:47]
	v_add_f64 v[3:4], v[178:179], v[137:138]
	v_mul_f64 v[137:138], v[59:60], s[48:49]
	v_add_f64 v[13:14], v[13:14], v[15:16]
	v_add_f64 v[11:12], v[129:130], v[127:128]
	v_fma_f64 v[117:118], v[29:30], s[28:29], v[117:118]
	v_fma_f64 v[146:147], v[31:32], s[28:29], -v[146:147]
	v_add_f64 v[15:16], v[143:144], v[133:134]
	v_add_f64 v[129:130], v[150:151], v[148:149]
	;; [unrolled: 1-line block ×3, first 2 shown]
	v_fma_f64 v[133:134], v[31:32], s[22:23], -v[162:163]
	v_fma_f64 v[150:151], v[41:42], s[24:25], -v[186:187]
	v_add_f64 v[143:144], v[170:171], v[160:161]
	v_add_f64 v[148:149], v[174:175], v[154:155]
	v_fma_f64 v[152:153], v[43:44], s[24:25], v[188:189]
	v_mul_f64 v[154:155], v[47:48], s[50:51]
	v_mul_f64 v[160:161], v[51:52], s[50:51]
	v_add_f64 v[123:124], v[123:124], v[180:181]
	v_add_f64 v[139:140], v[139:140], v[182:183]
	;; [unrolled: 1-line block ×3, first 2 shown]
	v_mul_f64 v[119:120], v[39:40], s[34:35]
	v_add_f64 v[9:10], v[9:10], v[111:112]
	v_fma_f64 v[111:112], v[73:74], s[12:13], -v[125:126]
	v_mul_f64 v[164:165], v[67:68], s[46:47]
	v_fma_f64 v[162:163], v[63:64], s[24:25], v[137:138]
	v_add_f64 v[13:14], v[13:14], v[109:110]
	v_add_f64 v[11:12], v[121:122], v[11:12]
	v_mul_f64 v[121:122], v[35:36], s[34:35]
	v_mul_f64 v[109:110], v[79:80], s[52:53]
	v_fma_f64 v[135:136], v[53:54], s[38:39], v[135:136]
	v_add_f64 v[129:130], v[141:142], v[129:130]
	v_mul_f64 v[166:167], v[59:60], s[16:17]
	v_add_f64 v[127:128], v[133:134], v[127:128]
	v_fma_f64 v[133:134], v[43:44], s[28:29], -v[168:169]
	v_add_f64 v[141:142], v[150:151], v[143:144]
	v_mul_f64 v[170:171], v[45:46], s[48:49]
	v_add_f64 v[143:144], v[152:153], v[148:149]
	v_fma_f64 v[148:149], v[53:54], s[10:11], -v[154:155]
	v_fma_f64 v[150:151], v[55:56], s[10:11], v[160:161]
	v_mul_f64 v[152:153], v[57:58], s[16:17]
	v_add_f64 v[117:118], v[117:118], v[123:124]
	v_add_f64 v[123:124], v[146:147], v[139:140]
	v_fma_f64 v[139:140], v[41:42], s[24:25], v[186:187]
	v_fma_f64 v[146:147], v[43:44], s[24:25], -v[188:189]
	v_add_f64 v[9:10], v[9:10], v[71:72]
	v_mul_f64 v[172:173], v[27:28], s[48:49]
	v_add_f64 v[15:16], v[162:163], v[15:16]
	v_fma_f64 v[162:163], v[75:76], s[12:13], v[164:165]
	v_add_f64 v[71:72], v[111:112], v[11:12]
	v_fma_f64 v[111:112], v[25:26], s[28:29], -v[119:120]
	v_fma_f64 v[168:169], v[23:24], s[28:29], v[121:122]
	v_fma_f64 v[174:175], v[81:82], s[14:15], -v[109:110]
	v_mul_f64 v[176:177], v[77:78], s[52:53]
	v_add_f64 v[129:130], v[135:136], v[129:130]
	v_fma_f64 v[131:132], v[61:62], s[24:25], v[131:132]
	v_add_f64 v[127:128], v[133:134], v[127:128]
	v_fma_f64 v[133:134], v[55:56], s[38:39], -v[158:159]
	v_add_f64 v[11:12], v[13:14], v[69:70]
	v_mul_f64 v[69:70], v[65:66], s[42:43]
	v_add_f64 v[135:136], v[148:149], v[141:142]
	v_add_f64 v[141:142], v[150:151], v[143:144]
	v_fma_f64 v[143:144], v[61:62], s[14:15], -v[152:153]
	v_fma_f64 v[148:149], v[63:64], s[14:15], v[166:167]
	v_mul_f64 v[150:151], v[67:68], s[42:43]
	v_add_f64 v[117:118], v[139:140], v[117:118]
	v_add_f64 v[123:124], v[146:147], v[123:124]
	v_fma_f64 v[139:140], v[53:54], s[10:11], v[154:155]
	v_fma_f64 v[146:147], v[55:56], s[10:11], -v[160:161]
	v_mul_f64 v[158:159], v[33:34], s[52:53]
	v_add_f64 v[15:16], v[162:163], v[15:16]
	v_fma_f64 v[160:161], v[31:32], s[24:25], v[172:173]
	v_add_f64 v[111:112], v[111:112], v[184:185]
	v_add_f64 v[154:155], v[168:169], v[156:157]
	v_fma_f64 v[156:157], v[29:30], s[24:25], -v[170:171]
	v_mul_f64 v[162:163], v[37:38], s[52:53]
	v_add_f64 v[13:14], v[174:175], v[71:72]
	v_fma_f64 v[71:72], v[49:50], s[14:15], v[176:177]
	v_add_f64 v[129:130], v[131:132], v[129:130]
	v_add_f64 v[127:128], v[133:134], v[127:128]
	v_fma_f64 v[133:134], v[63:64], s[24:25], -v[137:138]
	v_fma_f64 v[125:126], v[73:74], s[12:13], v[125:126]
	v_mul_f64 v[137:138], v[39:40], s[54:55]
	v_mul_f64 v[168:169], v[79:80], s[36:37]
	v_add_f64 v[131:132], v[143:144], v[135:136]
	v_add_f64 v[135:136], v[148:149], v[141:142]
	v_mul_f64 v[141:142], v[35:36], s[54:55]
	v_fma_f64 v[143:144], v[73:74], s[20:21], -v[69:70]
	v_fma_f64 v[148:149], v[75:76], s[20:21], v[150:151]
	v_mul_f64 v[174:175], v[77:78], s[36:37]
	v_add_f64 v[117:118], v[139:140], v[117:118]
	v_add_f64 v[123:124], v[146:147], v[123:124]
	v_fma_f64 v[139:140], v[61:62], s[14:15], v[152:153]
	v_fma_f64 v[146:147], v[63:64], s[14:15], -v[166:167]
	v_fma_f64 v[152:153], v[41:42], s[14:15], -v[158:159]
	v_fma_f64 v[119:120], v[25:26], s[28:29], v[119:120]
	v_add_f64 v[111:112], v[156:157], v[111:112]
	v_mul_f64 v[156:157], v[47:48], s[44:45]
	v_fma_f64 v[121:122], v[23:24], s[28:29], -v[121:122]
	v_add_f64 v[154:155], v[160:161], v[154:155]
	v_fma_f64 v[160:161], v[43:44], s[14:15], v[162:163]
	v_mul_f64 v[166:167], v[51:52], s[44:45]
	v_add_f64 v[15:16], v[71:72], v[15:16]
	v_add_f64 v[71:72], v[133:134], v[127:128]
	;; [unrolled: 1-line block ×3, first 2 shown]
	v_fma_f64 v[127:128], v[75:76], s[12:13], -v[164:165]
	v_fma_f64 v[129:130], v[25:26], s[38:39], -v[137:138]
	v_mul_f64 v[178:179], v[27:28], s[50:51]
	v_fma_f64 v[133:134], v[23:24], s[38:39], v[141:142]
	v_add_f64 v[131:132], v[143:144], v[131:132]
	v_add_f64 v[135:136], v[148:149], v[135:136]
	v_fma_f64 v[143:144], v[81:82], s[38:39], -v[168:169]
	v_fma_f64 v[148:149], v[49:50], s[38:39], v[174:175]
	v_mul_f64 v[164:165], v[45:46], s[50:51]
	v_add_f64 v[117:118], v[139:140], v[117:118]
	v_add_f64 v[123:124], v[146:147], v[123:124]
	v_fma_f64 v[139:140], v[73:74], s[20:21], v[69:70]
	v_add_f64 v[113:114], v[119:120], v[113:114]
	v_add_f64 v[111:112], v[152:153], v[111:112]
	v_fma_f64 v[146:147], v[53:54], s[12:13], -v[156:157]
	v_mul_f64 v[152:153], v[57:58], s[36:37]
	v_add_f64 v[115:116], v[121:122], v[115:116]
	v_fma_f64 v[119:120], v[29:30], s[24:25], v[170:171]
	v_fma_f64 v[121:122], v[31:32], s[24:25], -v[172:173]
	v_mul_f64 v[170:171], v[39:40], s[48:49]
	v_mul_f64 v[172:173], v[35:36], s[48:49]
	v_add_f64 v[154:155], v[160:161], v[154:155]
	v_fma_f64 v[160:161], v[55:56], s[12:13], v[166:167]
	v_add_f64 v[129:130], v[129:130], v[17:18]
	v_fma_f64 v[182:183], v[31:32], s[10:11], v[178:179]
	v_add_f64 v[133:134], v[133:134], v[19:20]
	v_mul_f64 v[186:187], v[37:38], s[44:45]
	v_fma_f64 v[137:138], v[25:26], s[38:39], v[137:138]
	v_mul_f64 v[188:189], v[59:60], s[36:37]
	v_add_f64 v[17:18], v[143:144], v[131:132]
	v_add_f64 v[19:20], v[148:149], v[135:136]
	;; [unrolled: 1-line block ×3, first 2 shown]
	v_fma_f64 v[71:72], v[23:24], s[38:39], -v[141:142]
	v_mul_f64 v[131:132], v[65:66], s[56:57]
	v_add_f64 v[117:118], v[139:140], v[117:118]
	v_mul_f64 v[141:142], v[45:46], s[16:17]
	v_add_f64 v[111:112], v[146:147], v[111:112]
	v_fma_f64 v[127:128], v[61:62], s[38:39], -v[152:153]
	v_mul_f64 v[143:144], v[27:28], s[16:17]
	v_add_f64 v[113:114], v[119:120], v[113:114]
	v_add_f64 v[115:116], v[121:122], v[115:116]
	v_fma_f64 v[119:120], v[41:42], s[14:15], v[158:159]
	v_fma_f64 v[121:122], v[43:44], s[14:15], -v[162:163]
	v_fma_f64 v[135:136], v[25:26], s[24:25], -v[170:171]
	v_fma_f64 v[139:140], v[23:24], s[24:25], v[172:173]
	v_fma_f64 v[150:151], v[75:76], s[20:21], -v[150:151]
	v_fma_f64 v[180:181], v[29:30], s[10:11], -v[164:165]
	v_mul_f64 v[184:185], v[33:34], s[44:45]
	v_add_f64 v[133:134], v[182:183], v[133:134]
	v_fma_f64 v[148:149], v[43:44], s[12:13], v[186:187]
	v_add_f64 v[105:106], v[137:138], v[105:106]
	v_mul_f64 v[158:159], v[51:52], s[34:35]
	v_fma_f64 v[162:163], v[29:30], s[10:11], v[164:165]
	v_add_f64 v[154:155], v[160:161], v[154:155]
	v_fma_f64 v[160:161], v[63:64], s[38:39], v[188:189]
	v_add_f64 v[71:72], v[71:72], v[103:104]
	v_fma_f64 v[103:104], v[31:32], s[10:11], -v[178:179]
	v_mul_f64 v[164:165], v[67:68], s[56:57]
	v_mul_f64 v[137:138], v[47:48], s[34:35]
	v_add_f64 v[111:112], v[127:128], v[111:112]
	v_fma_f64 v[127:128], v[73:74], s[22:23], -v[131:132]
	v_fma_f64 v[166:167], v[55:56], s[12:13], -v[166:167]
	v_mul_f64 v[178:179], v[59:60], s[58:59]
	v_add_f64 v[113:114], v[119:120], v[113:114]
	v_add_f64 v[115:116], v[121:122], v[115:116]
	v_fma_f64 v[119:120], v[53:54], s[12:13], v[156:157]
	v_add_f64 v[21:22], v[135:136], v[21:22]
	v_add_f64 v[107:108], v[139:140], v[107:108]
	v_fma_f64 v[121:122], v[29:30], s[14:15], -v[141:142]
	v_fma_f64 v[135:136], v[31:32], s[14:15], v[143:144]
	v_mul_f64 v[139:140], v[33:34], s[36:37]
	v_mul_f64 v[156:157], v[37:38], s[36:37]
	v_add_f64 v[129:130], v[180:181], v[129:130]
	v_fma_f64 v[146:147], v[41:42], s[12:13], -v[184:185]
	v_add_f64 v[133:134], v[148:149], v[133:134]
	v_fma_f64 v[148:149], v[55:56], s[28:29], v[158:159]
	v_add_f64 v[105:106], v[162:163], v[105:106]
	v_fma_f64 v[180:181], v[41:42], s[12:13], v[184:185]
	v_add_f64 v[71:72], v[103:104], v[71:72]
	v_fma_f64 v[103:104], v[43:44], s[12:13], -v[186:187]
	v_add_f64 v[123:124], v[150:151], v[123:124]
	v_add_f64 v[150:151], v[160:161], v[154:155]
	v_fma_f64 v[109:110], v[81:82], s[14:15], v[109:110]
	v_add_f64 v[111:112], v[127:128], v[111:112]
	v_fma_f64 v[127:128], v[75:76], s[22:23], v[164:165]
	v_mul_f64 v[154:155], v[47:48], s[58:59]
	v_mul_f64 v[162:163], v[57:58], s[58:59]
	v_add_f64 v[113:114], v[119:120], v[113:114]
	v_fma_f64 v[119:120], v[61:62], s[38:39], v[152:153]
	v_add_f64 v[115:116], v[166:167], v[115:116]
	v_add_f64 v[121:122], v[121:122], v[21:22]
	;; [unrolled: 1-line block ×3, first 2 shown]
	v_fma_f64 v[135:136], v[41:42], s[38:39], -v[139:140]
	v_fma_f64 v[152:153], v[43:44], s[38:39], v[156:157]
	v_fma_f64 v[166:167], v[63:64], s[38:39], -v[188:189]
	v_add_f64 v[129:130], v[146:147], v[129:130]
	v_fma_f64 v[146:147], v[53:54], s[28:29], -v[137:138]
	v_add_f64 v[133:134], v[148:149], v[133:134]
	v_fma_f64 v[148:149], v[63:64], s[20:21], v[178:179]
	v_add_f64 v[105:106], v[180:181], v[105:106]
	v_mul_f64 v[182:183], v[67:68], s[16:17]
	v_add_f64 v[103:104], v[103:104], v[71:72]
	v_fma_f64 v[137:138], v[53:54], s[28:29], v[137:138]
	v_fma_f64 v[158:159], v[55:56], s[28:29], -v[158:159]
	v_add_f64 v[21:22], v[109:110], v[125:126]
	v_fma_f64 v[164:165], v[75:76], s[22:23], -v[164:165]
	v_add_f64 v[125:126], v[127:128], v[150:151]
	v_fma_f64 v[127:128], v[53:54], s[20:21], -v[154:155]
	v_fma_f64 v[141:142], v[29:30], s[14:15], v[141:142]
	v_fma_f64 v[109:110], v[81:82], s[38:39], v[168:169]
	v_fma_f64 v[168:169], v[23:24], s[24:25], -v[172:173]
	v_fma_f64 v[143:144], v[31:32], s[14:15], -v[143:144]
	v_mul_f64 v[160:161], v[51:52], s[58:59]
	v_mul_f64 v[180:181], v[65:66], s[16:17]
	v_add_f64 v[121:122], v[135:136], v[121:122]
	v_add_f64 v[107:108], v[152:153], v[107:108]
	v_mul_f64 v[135:136], v[57:58], s[40:41]
	v_fma_f64 v[152:153], v[25:26], s[24:25], v[170:171]
	v_add_f64 v[129:130], v[146:147], v[129:130]
	v_fma_f64 v[146:147], v[61:62], s[20:21], -v[162:163]
	v_add_f64 v[115:116], v[166:167], v[115:116]
	v_add_f64 v[133:134], v[148:149], v[133:134]
	v_fma_f64 v[148:149], v[75:76], s[14:15], v[182:183]
	v_mul_f64 v[170:171], v[35:36], s[46:47]
	v_add_f64 v[105:106], v[137:138], v[105:106]
	v_add_f64 v[103:104], v[158:159], v[103:104]
	v_fma_f64 v[137:138], v[61:62], s[20:21], v[162:163]
	v_fma_f64 v[158:159], v[63:64], s[20:21], -v[178:179]
	v_mul_f64 v[162:163], v[39:40], s[46:47]
	v_mul_f64 v[39:40], v[39:40], s[52:53]
	;; [unrolled: 1-line block ×3, first 2 shown]
	v_add_f64 v[113:114], v[119:120], v[113:114]
	v_add_f64 v[95:96], v[168:169], v[95:96]
	v_fma_f64 v[119:120], v[73:74], s[22:23], v[131:132]
	v_fma_f64 v[131:132], v[55:56], s[20:21], v[160:161]
	v_mul_f64 v[150:151], v[59:60], s[40:41]
	v_add_f64 v[121:122], v[127:128], v[121:122]
	v_fma_f64 v[71:72], v[49:50], s[14:15], -v[176:177]
	v_fma_f64 v[127:128], v[61:62], s[10:11], -v[135:136]
	v_add_f64 v[97:98], v[152:153], v[97:98]
	v_mul_f64 v[166:167], v[79:80], s[50:51]
	v_add_f64 v[129:130], v[146:147], v[129:130]
	v_add_f64 v[115:116], v[164:165], v[115:116]
	v_mul_f64 v[164:165], v[27:28], s[42:43]
	v_add_f64 v[133:134], v[148:149], v[133:134]
	v_fma_f64 v[148:149], v[23:24], s[12:13], v[170:171]
	v_fma_f64 v[170:171], v[23:24], s[12:13], -v[170:171]
	v_mul_f64 v[27:28], v[27:28], s[36:37]
	v_add_f64 v[105:106], v[137:138], v[105:106]
	v_add_f64 v[103:104], v[158:159], v[103:104]
	v_fma_f64 v[137:138], v[25:26], s[12:13], -v[162:163]
	v_mul_f64 v[158:159], v[45:46], s[42:43]
	v_fma_f64 v[162:163], v[25:26], s[12:13], v[162:163]
	v_mul_f64 v[45:46], v[45:46], s[36:37]
	v_add_f64 v[95:96], v[143:144], v[95:96]
	v_fma_f64 v[146:147], v[73:74], s[14:15], -v[180:181]
	v_add_f64 v[107:108], v[131:132], v[107:108]
	v_fma_f64 v[131:132], v[63:64], s[10:11], v[150:151]
	v_mul_f64 v[143:144], v[65:66], s[34:35]
	v_fma_f64 v[172:173], v[49:50], s[38:39], -v[174:175]
	v_add_f64 v[121:122], v[127:128], v[121:122]
	v_fma_f64 v[127:128], v[25:26], s[14:15], -v[39:40]
	v_add_f64 v[97:98], v[141:142], v[97:98]
	v_fma_f64 v[141:142], v[23:24], s[14:15], v[35:36]
	v_fma_f64 v[25:26], v[25:26], s[14:15], v[39:40]
	v_fma_f64 v[23:24], v[23:24], s[14:15], -v[35:36]
	v_mul_f64 v[35:36], v[67:68], s[34:35]
	v_add_f64 v[85:86], v[148:149], v[85:86]
	v_fma_f64 v[148:149], v[31:32], s[20:21], v[164:165]
	v_add_f64 v[89:90], v[170:171], v[89:90]
	v_mul_f64 v[170:171], v[37:38], s[56:57]
	v_fma_f64 v[164:165], v[31:32], s[20:21], -v[164:165]
	v_add_f64 v[83:84], v[137:138], v[83:84]
	v_fma_f64 v[137:138], v[29:30], s[20:21], -v[158:159]
	v_add_f64 v[87:88], v[162:163], v[87:88]
	v_mul_f64 v[162:163], v[33:34], s[56:57]
	v_fma_f64 v[158:159], v[29:30], s[20:21], v[158:159]
	v_mul_f64 v[33:34], v[33:34], s[50:51]
	v_mul_f64 v[37:38], v[37:38], s[50:51]
	v_add_f64 v[113:114], v[119:120], v[113:114]
	v_mul_f64 v[119:120], v[77:78], s[50:51]
	v_add_f64 v[129:130], v[146:147], v[129:130]
	;; [unrolled: 2-line block ×4, first 2 shown]
	v_fma_f64 v[141:142], v[29:30], s[38:39], -v[45:46]
	v_add_f64 v[25:26], v[25:26], v[101:102]
	v_fma_f64 v[101:102], v[31:32], s[38:39], v[27:28]
	v_add_f64 v[23:24], v[23:24], v[99:100]
	v_fma_f64 v[27:28], v[31:32], s[38:39], -v[27:28]
	v_fma_f64 v[29:30], v[29:30], s[38:39], v[45:46]
	v_fma_f64 v[31:32], v[41:42], s[38:39], v[139:140]
	v_fma_f64 v[139:140], v[43:44], s[38:39], -v[156:157]
	v_add_f64 v[85:86], v[148:149], v[85:86]
	v_add_f64 v[83:84], v[137:138], v[83:84]
	v_fma_f64 v[148:149], v[43:44], s[22:23], v[170:171]
	v_fma_f64 v[137:138], v[41:42], s[22:23], -v[162:163]
	v_mul_f64 v[156:157], v[47:48], s[16:17]
	v_add_f64 v[87:88], v[158:159], v[87:88]
	v_mul_f64 v[158:159], v[51:52], s[16:17]
	v_add_f64 v[89:90], v[164:165], v[89:90]
	v_fma_f64 v[162:163], v[41:42], s[22:23], v[162:163]
	v_fma_f64 v[170:171], v[43:44], s[22:23], -v[170:171]
	v_mul_f64 v[47:48], v[47:48], s[30:31]
	v_mul_f64 v[51:52], v[51:52], s[30:31]
	v_add_f64 v[107:108], v[131:132], v[107:108]
	v_fma_f64 v[174:175], v[73:74], s[14:15], v[180:181]
	v_add_f64 v[91:92], v[141:142], v[91:92]
	v_fma_f64 v[141:142], v[43:44], s[10:11], v[37:38]
	v_add_f64 v[93:94], v[101:102], v[93:94]
	v_fma_f64 v[101:102], v[41:42], s[10:11], -v[33:34]
	v_add_f64 v[23:24], v[27:28], v[23:24]
	v_fma_f64 v[27:28], v[41:42], s[10:11], v[33:34]
	v_fma_f64 v[33:34], v[43:44], s[10:11], -v[37:38]
	v_add_f64 v[25:26], v[29:30], v[25:26]
	v_add_f64 v[31:32], v[31:32], v[97:98]
	;; [unrolled: 1-line block ×3, first 2 shown]
	v_fma_f64 v[41:42], v[53:54], s[20:21], v[154:155]
	v_fma_f64 v[43:44], v[55:56], s[20:21], -v[160:161]
	v_add_f64 v[83:84], v[137:138], v[83:84]
	v_add_f64 v[85:86], v[148:149], v[85:86]
	v_fma_f64 v[95:96], v[53:54], s[14:15], -v[156:157]
	v_fma_f64 v[97:98], v[55:56], s[14:15], v[158:159]
	v_mul_f64 v[137:138], v[57:58], s[34:35]
	v_mul_f64 v[139:140], v[59:60], s[34:35]
	v_add_f64 v[87:88], v[162:163], v[87:88]
	v_add_f64 v[89:90], v[170:171], v[89:90]
	v_fma_f64 v[148:149], v[53:54], s[14:15], v[156:157]
	v_fma_f64 v[154:155], v[55:56], s[14:15], -v[158:159]
	v_mul_f64 v[57:58], v[57:58], s[46:47]
	v_mul_f64 v[59:60], v[59:60], s[46:47]
	v_add_f64 v[93:94], v[141:142], v[93:94]
	v_add_f64 v[91:92], v[101:102], v[91:92]
	v_fma_f64 v[101:102], v[53:54], s[22:23], -v[47:48]
	v_fma_f64 v[141:142], v[55:56], s[22:23], v[51:52]
	v_add_f64 v[23:24], v[33:34], v[23:24]
	v_fma_f64 v[33:34], v[55:56], s[22:23], -v[51:52]
	v_add_f64 v[25:26], v[27:28], v[25:26]
	v_fma_f64 v[27:28], v[53:54], s[22:23], v[47:48]
	v_add_f64 v[31:32], v[41:42], v[31:32]
	v_add_f64 v[37:38], v[43:44], v[37:38]
	v_fma_f64 v[41:42], v[61:62], s[10:11], v[135:136]
	v_fma_f64 v[43:44], v[63:64], s[10:11], -v[150:151]
	v_add_f64 v[47:48], v[95:96], v[83:84]
	v_add_f64 v[51:52], v[97:98], v[85:86]
	v_fma_f64 v[53:54], v[61:62], s[28:29], -v[137:138]
	v_fma_f64 v[55:56], v[63:64], s[28:29], v[139:140]
	v_mul_f64 v[83:84], v[65:66], s[50:51]
	v_mul_f64 v[85:86], v[67:68], s[50:51]
	v_add_f64 v[87:88], v[148:149], v[87:88]
	v_add_f64 v[89:90], v[154:155], v[89:90]
	v_fma_f64 v[95:96], v[61:62], s[28:29], v[137:138]
	v_fma_f64 v[97:98], v[63:64], s[28:29], -v[139:140]
	v_fma_f64 v[135:136], v[63:64], s[12:13], v[59:60]
	v_mul_f64 v[65:66], v[65:66], s[26:27]
	v_add_f64 v[91:92], v[101:102], v[91:92]
	v_add_f64 v[93:94], v[141:142], v[93:94]
	v_fma_f64 v[101:102], v[61:62], s[12:13], -v[57:58]
	v_mul_f64 v[67:68], v[67:68], s[26:27]
	v_add_f64 v[23:24], v[33:34], v[23:24]
	v_fma_f64 v[33:34], v[63:64], s[12:13], -v[59:60]
	v_add_f64 v[25:26], v[27:28], v[25:26]
	v_fma_f64 v[27:28], v[61:62], s[12:13], v[57:58]
	v_fma_f64 v[176:177], v[75:76], s[14:15], -v[182:183]
	v_fma_f64 v[99:100], v[73:74], s[28:29], -v[143:144]
	v_fma_f64 v[45:46], v[75:76], s[28:29], v[35:36]
	v_mul_f64 v[164:165], v[79:80], s[46:47]
	v_mul_f64 v[29:30], v[77:78], s[46:47]
	v_add_f64 v[31:32], v[41:42], v[31:32]
	v_add_f64 v[37:38], v[43:44], v[37:38]
	v_fma_f64 v[41:42], v[73:74], s[28:29], v[143:144]
	v_fma_f64 v[35:36], v[75:76], s[28:29], -v[35:36]
	v_add_f64 v[43:44], v[53:54], v[47:48]
	v_add_f64 v[47:48], v[55:56], v[51:52]
	v_fma_f64 v[51:52], v[73:74], s[10:11], -v[83:84]
	v_fma_f64 v[53:54], v[75:76], s[10:11], v[85:86]
	v_mul_f64 v[55:56], v[79:80], s[26:27]
	v_mul_f64 v[57:58], v[77:78], s[26:27]
	v_add_f64 v[59:60], v[95:96], v[87:88]
	v_add_f64 v[61:62], v[97:98], v[89:90]
	v_fma_f64 v[63:64], v[73:74], s[10:11], v[83:84]
	v_fma_f64 v[83:84], v[75:76], s[10:11], -v[85:86]
	v_add_f64 v[85:86], v[101:102], v[91:92]
	v_add_f64 v[87:88], v[135:136], v[93:94]
	v_fma_f64 v[89:90], v[73:74], s[24:25], -v[65:66]
	v_fma_f64 v[91:92], v[75:76], s[24:25], v[67:68]
	v_mul_f64 v[79:80], v[79:80], s[58:59]
	v_mul_f64 v[77:78], v[77:78], s[58:59]
	v_add_f64 v[23:24], v[33:34], v[23:24]
	v_fma_f64 v[33:34], v[75:76], s[24:25], -v[67:68]
	v_add_f64 v[25:26], v[27:28], v[25:26]
	v_fma_f64 v[27:28], v[73:74], s[24:25], v[65:66]
	v_fma_f64 v[152:153], v[81:82], s[10:11], -v[166:167]
	v_fma_f64 v[166:167], v[81:82], s[10:11], v[166:167]
	v_fma_f64 v[39:40], v[81:82], s[22:23], -v[146:147]
	v_add_f64 v[65:66], v[174:175], v[105:106]
	v_add_f64 v[67:68], v[176:177], v[103:104]
	v_fma_f64 v[73:74], v[81:82], s[22:23], v[146:147]
	v_add_f64 v[75:76], v[99:100], v[121:122]
	v_add_f64 v[93:94], v[45:46], v[107:108]
	v_fma_f64 v[45:46], v[81:82], s[12:13], -v[164:165]
	v_add_f64 v[97:98], v[41:42], v[31:32]
	v_add_f64 v[36:37], v[35:36], v[37:38]
	;; [unrolled: 1-line block ×4, first 2 shown]
	v_fma_f64 v[99:100], v[81:82], s[24:25], -v[55:56]
	v_fma_f64 v[101:102], v[49:50], s[24:25], v[57:58]
	v_add_f64 v[59:60], v[63:64], v[59:60]
	v_add_f64 v[83:84], v[83:84], v[61:62]
	v_fma_f64 v[55:56], v[81:82], s[24:25], v[55:56]
	v_add_f64 v[61:62], v[89:90], v[85:86]
	v_add_f64 v[63:64], v[91:92], v[87:88]
	v_fma_f64 v[85:86], v[81:82], s[20:21], -v[79:80]
	v_fma_f64 v[87:88], v[49:50], s[20:21], v[77:78]
	v_add_f64 v[23:24], v[33:34], v[23:24]
	v_fma_f64 v[79:80], v[81:82], s[20:21], v[79:80]
	v_fma_f64 v[77:78], v[49:50], s[20:21], -v[77:78]
	v_fma_f64 v[81:82], v[81:82], s[12:13], v[164:165]
	v_fma_f64 v[103:104], v[49:50], s[12:13], -v[29:30]
	;; [unrolled: 2-line block ×3, first 2 shown]
	v_fma_f64 v[127:128], v[49:50], s[22:23], v[168:169]
	v_add_f64 v[89:90], v[27:28], v[25:26]
	v_fma_f64 v[107:108], v[49:50], s[10:11], -v[119:120]
	v_fma_f64 v[95:96], v[49:50], s[12:13], v[29:30]
	v_fma_f64 v[91:92], v[49:50], s[24:25], -v[57:58]
	v_mul_hi_u32 v25, 0x24924925, v0
	v_add_f64 v[42:43], v[73:74], v[65:66]
	v_add_f64 v[46:47], v[45:46], v[75:76]
	v_add_f64 v[50:51], v[99:100], v[51:52]
	v_add_f64 v[52:53], v[101:102], v[53:54]
	v_add_f64 v[54:55], v[55:56], v[59:60]
	ds_write_b128 v145, v[9:12]
	ds_write_b128 v145, v[1:4] offset:272
	ds_write_b128 v145, v[13:16] offset:544
	v_add_f64 v[30:31], v[152:153], v[111:112]
	v_add_f64 v[58:59], v[85:86], v[61:62]
	v_add_f64 v[60:61], v[87:88], v[63:64]
	v_mul_u32_u24_e32 v1, 7, v25
	v_add_f64 v[34:35], v[166:167], v[113:114]
	v_add_f64 v[64:65], v[77:78], v[23:24]
	;; [unrolled: 1-line block ×15, first 2 shown]
	v_sub_nc_u32_e32 v0, v0, v1
	ds_write_b128 v145, v[17:20] offset:816
	ds_write_b128 v145, v[30:33] offset:1088
	;; [unrolled: 1-line block ×4, first 2 shown]
	v_add_nc_u32_e32 v1, s3, v0
	ds_write_b128 v145, v[50:53] offset:1904
	ds_write_b128 v145, v[58:61] offset:2176
	ds_write_b128 v145, v[62:65] offset:2448
	ds_write_b128 v145, v[54:57] offset:2720
	ds_write_b128 v145, v[73:76] offset:2992
	ds_write_b128 v145, v[42:45] offset:3264
	ds_write_b128 v145, v[34:37] offset:3536
	ds_write_b128 v145, v[26:29] offset:3808
	ds_write_b128 v145, v[21:24] offset:4080
	ds_write_b128 v145, v[5:8] offset:4352
	s_waitcnt lgkmcnt(0)
	v_cmp_gt_u32_e32 vcc_lo, s33, v1
	s_barrier
	buffer_gl0_inv
	s_or_b32 s3, s63, vcc_lo
	s_and_saveexec_b32 s8, s3
	s_cbranch_execz .LBB0_17
; %bb.16:
	v_mad_u64_u32 v[1:2], null, s0, v0, 0
	s_mul_i32 s0, s7, s62
	s_mul_hi_u32 s3, s6, s62
	s_mul_i32 s6, s6, s62
	v_mul_lo_u32 v20, v25, s2
	s_add_i32 s7, s3, s0
	s_mul_i32 s0, s2, 17
	v_mad_u64_u32 v[2:3], null, s1, v0, v[2:3]
	s_lshl_b64 s[2:3], s[6:7], 4
	v_mov_b32_e32 v21, 0
	s_add_u32 s1, s18, s2
	s_addc_u32 s6, s19, s3
	s_lshl_b64 s[2:3], s[4:5], 4
	v_mul_i32_i24_e32 v4, 0x1210, v0
	v_lshlrev_b64 v[10:11], 4, v[1:2]
	v_lshlrev_b32_e32 v5, 4, v25
	s_add_u32 s1, s1, s2
	v_lshlrev_b64 v[8:9], 4, v[20:21]
	s_addc_u32 s2, s6, s3
	v_add_nc_u32_e32 v20, s0, v20
	v_add_co_u32 v30, vcc_lo, s1, v10
	v_add3_u32 v28, 0, v4, v5
	v_add_co_ci_u32_e32 v31, vcc_lo, s2, v11, vcc_lo
	v_add_co_u32 v22, vcc_lo, v30, v8
	ds_read_b128 v[0:3], v28
	ds_read_b128 v[4:7], v28 offset:272
	v_lshlrev_b64 v[16:17], 4, v[20:21]
	v_add_nc_u32_e32 v20, s0, v20
	v_add_co_ci_u32_e32 v23, vcc_lo, v31, v9, vcc_lo
	ds_read_b128 v[8:11], v28 offset:544
	ds_read_b128 v[12:15], v28 offset:816
	v_lshlrev_b64 v[18:19], 4, v[20:21]
	v_add_nc_u32_e32 v20, s0, v20
	v_add_co_u32 v16, vcc_lo, v30, v16
	v_add_co_ci_u32_e32 v17, vcc_lo, v31, v17, vcc_lo
	v_lshlrev_b64 v[24:25], 4, v[20:21]
	v_add_nc_u32_e32 v20, s0, v20
	v_add_co_u32 v18, vcc_lo, v30, v18
	v_add_co_ci_u32_e32 v19, vcc_lo, v31, v19, vcc_lo
	v_add_co_u32 v24, vcc_lo, v30, v24
	v_lshlrev_b64 v[26:27], 4, v[20:21]
	v_add_nc_u32_e32 v20, s0, v20
	v_add_co_ci_u32_e32 v25, vcc_lo, v31, v25, vcc_lo
	s_waitcnt lgkmcnt(3)
	global_store_dwordx4 v[22:23], v[0:3], off
	s_waitcnt lgkmcnt(2)
	global_store_dwordx4 v[16:17], v[4:7], off
	;; [unrolled: 2-line block ×4, first 2 shown]
	ds_read_b128 v[0:3], v28 offset:1088
	ds_read_b128 v[4:7], v28 offset:1360
	v_lshlrev_b64 v[16:17], 4, v[20:21]
	v_add_nc_u32_e32 v20, s0, v20
	ds_read_b128 v[8:11], v28 offset:1632
	ds_read_b128 v[12:15], v28 offset:1904
	v_add_co_u32 v18, vcc_lo, v30, v26
	v_add_co_ci_u32_e32 v19, vcc_lo, v31, v27, vcc_lo
	v_lshlrev_b64 v[22:23], 4, v[20:21]
	v_add_nc_u32_e32 v20, s0, v20
	v_add_co_u32 v16, vcc_lo, v30, v16
	v_add_co_ci_u32_e32 v17, vcc_lo, v31, v17, vcc_lo
	v_lshlrev_b64 v[24:25], 4, v[20:21]
	v_add_nc_u32_e32 v20, s0, v20
	v_add_co_u32 v22, vcc_lo, v30, v22
	v_add_co_ci_u32_e32 v23, vcc_lo, v31, v23, vcc_lo
	v_add_co_u32 v24, vcc_lo, v30, v24
	v_lshlrev_b64 v[26:27], 4, v[20:21]
	v_add_nc_u32_e32 v20, s0, v20
	v_add_co_ci_u32_e32 v25, vcc_lo, v31, v25, vcc_lo
	s_waitcnt lgkmcnt(3)
	global_store_dwordx4 v[18:19], v[0:3], off
	s_waitcnt lgkmcnt(2)
	global_store_dwordx4 v[16:17], v[4:7], off
	;; [unrolled: 2-line block ×4, first 2 shown]
	ds_read_b128 v[0:3], v28 offset:2176
	ds_read_b128 v[4:7], v28 offset:2448
	v_lshlrev_b64 v[16:17], 4, v[20:21]
	v_add_nc_u32_e32 v20, s0, v20
	ds_read_b128 v[8:11], v28 offset:2720
	ds_read_b128 v[12:15], v28 offset:2992
	v_add_co_u32 v18, vcc_lo, v30, v26
	v_add_co_ci_u32_e32 v19, vcc_lo, v31, v27, vcc_lo
	v_lshlrev_b64 v[22:23], 4, v[20:21]
	v_add_nc_u32_e32 v20, s0, v20
	v_add_co_u32 v16, vcc_lo, v30, v16
	v_add_co_ci_u32_e32 v17, vcc_lo, v31, v17, vcc_lo
	v_lshlrev_b64 v[24:25], 4, v[20:21]
	v_add_nc_u32_e32 v20, s0, v20
	;; [unrolled: 4-line block ×3, first 2 shown]
	v_add_co_u32 v24, vcc_lo, v30, v24
	v_add_co_ci_u32_e32 v25, vcc_lo, v31, v25, vcc_lo
	s_waitcnt lgkmcnt(3)
	global_store_dwordx4 v[18:19], v[0:3], off
	s_waitcnt lgkmcnt(2)
	global_store_dwordx4 v[16:17], v[4:7], off
	;; [unrolled: 2-line block ×4, first 2 shown]
	v_lshlrev_b64 v[8:9], 4, v[20:21]
	v_add_co_u32 v22, vcc_lo, v30, v26
	v_add_nc_u32_e32 v20, s0, v20
	v_add_co_ci_u32_e32 v23, vcc_lo, v31, v27, vcc_lo
	v_add_co_u32 v26, vcc_lo, v30, v8
	ds_read_b128 v[0:3], v28 offset:3264
	ds_read_b128 v[4:7], v28 offset:3536
	v_add_co_ci_u32_e32 v27, vcc_lo, v31, v9, vcc_lo
	ds_read_b128 v[8:11], v28 offset:3808
	ds_read_b128 v[12:15], v28 offset:4080
	;; [unrolled: 1-line block ×3, first 2 shown]
	v_lshlrev_b64 v[24:25], 4, v[20:21]
	v_add_nc_u32_e32 v20, s0, v20
	v_lshlrev_b64 v[28:29], 4, v[20:21]
	v_add_nc_u32_e32 v20, s0, v20
	v_add_co_u32 v24, vcc_lo, v30, v24
	v_add_co_ci_u32_e32 v25, vcc_lo, v31, v25, vcc_lo
	v_lshlrev_b64 v[20:21], 4, v[20:21]
	v_add_co_u32 v28, vcc_lo, v30, v28
	v_add_co_ci_u32_e32 v29, vcc_lo, v31, v29, vcc_lo
	v_add_co_u32 v20, vcc_lo, v30, v20
	v_add_co_ci_u32_e32 v21, vcc_lo, v31, v21, vcc_lo
	s_waitcnt lgkmcnt(4)
	global_store_dwordx4 v[22:23], v[0:3], off
	s_waitcnt lgkmcnt(3)
	global_store_dwordx4 v[26:27], v[4:7], off
	s_waitcnt lgkmcnt(2)
	global_store_dwordx4 v[24:25], v[8:11], off
	s_waitcnt lgkmcnt(1)
	global_store_dwordx4 v[28:29], v[12:15], off
	s_waitcnt lgkmcnt(0)
	global_store_dwordx4 v[20:21], v[16:19], off
.LBB0_17:
	s_endpgm
	.section	.rodata,"a",@progbits
	.p2align	6, 0x0
	.amdhsa_kernel fft_rtc_fwd_len289_factors_17_17_wgs_119_tpt_17_dp_op_CI_CI_sbrc_unaligned
		.amdhsa_group_segment_fixed_size 0
		.amdhsa_private_segment_fixed_size 0
		.amdhsa_kernarg_size 104
		.amdhsa_user_sgpr_count 6
		.amdhsa_user_sgpr_private_segment_buffer 1
		.amdhsa_user_sgpr_dispatch_ptr 0
		.amdhsa_user_sgpr_queue_ptr 0
		.amdhsa_user_sgpr_kernarg_segment_ptr 1
		.amdhsa_user_sgpr_dispatch_id 0
		.amdhsa_user_sgpr_flat_scratch_init 0
		.amdhsa_user_sgpr_private_segment_size 0
		.amdhsa_wavefront_size32 1
		.amdhsa_uses_dynamic_stack 0
		.amdhsa_system_sgpr_private_segment_wavefront_offset 0
		.amdhsa_system_sgpr_workgroup_id_x 1
		.amdhsa_system_sgpr_workgroup_id_y 0
		.amdhsa_system_sgpr_workgroup_id_z 0
		.amdhsa_system_sgpr_workgroup_info 0
		.amdhsa_system_vgpr_workitem_id 0
		.amdhsa_next_free_vgpr 215
		.amdhsa_next_free_sgpr 64
		.amdhsa_reserve_vcc 1
		.amdhsa_reserve_flat_scratch 0
		.amdhsa_float_round_mode_32 0
		.amdhsa_float_round_mode_16_64 0
		.amdhsa_float_denorm_mode_32 3
		.amdhsa_float_denorm_mode_16_64 3
		.amdhsa_dx10_clamp 1
		.amdhsa_ieee_mode 1
		.amdhsa_fp16_overflow 0
		.amdhsa_workgroup_processor_mode 1
		.amdhsa_memory_ordered 1
		.amdhsa_forward_progress 0
		.amdhsa_shared_vgpr_count 0
		.amdhsa_exception_fp_ieee_invalid_op 0
		.amdhsa_exception_fp_denorm_src 0
		.amdhsa_exception_fp_ieee_div_zero 0
		.amdhsa_exception_fp_ieee_overflow 0
		.amdhsa_exception_fp_ieee_underflow 0
		.amdhsa_exception_fp_ieee_inexact 0
		.amdhsa_exception_int_div_zero 0
	.end_amdhsa_kernel
	.text
.Lfunc_end0:
	.size	fft_rtc_fwd_len289_factors_17_17_wgs_119_tpt_17_dp_op_CI_CI_sbrc_unaligned, .Lfunc_end0-fft_rtc_fwd_len289_factors_17_17_wgs_119_tpt_17_dp_op_CI_CI_sbrc_unaligned
                                        ; -- End function
	.section	.AMDGPU.csdata,"",@progbits
; Kernel info:
; codeLenInByte = 17652
; NumSgprs: 66
; NumVgprs: 215
; ScratchSize: 0
; MemoryBound: 0
; FloatMode: 240
; IeeeMode: 1
; LDSByteSize: 0 bytes/workgroup (compile time only)
; SGPRBlocks: 8
; VGPRBlocks: 26
; NumSGPRsForWavesPerEU: 66
; NumVGPRsForWavesPerEU: 215
; Occupancy: 4
; WaveLimiterHint : 1
; COMPUTE_PGM_RSRC2:SCRATCH_EN: 0
; COMPUTE_PGM_RSRC2:USER_SGPR: 6
; COMPUTE_PGM_RSRC2:TRAP_HANDLER: 0
; COMPUTE_PGM_RSRC2:TGID_X_EN: 1
; COMPUTE_PGM_RSRC2:TGID_Y_EN: 0
; COMPUTE_PGM_RSRC2:TGID_Z_EN: 0
; COMPUTE_PGM_RSRC2:TIDIG_COMP_CNT: 0
	.text
	.p2alignl 6, 3214868480
	.fill 48, 4, 3214868480
	.type	__hip_cuid_8201fc5df19c78a7,@object ; @__hip_cuid_8201fc5df19c78a7
	.section	.bss,"aw",@nobits
	.globl	__hip_cuid_8201fc5df19c78a7
__hip_cuid_8201fc5df19c78a7:
	.byte	0                               ; 0x0
	.size	__hip_cuid_8201fc5df19c78a7, 1

	.ident	"AMD clang version 19.0.0git (https://github.com/RadeonOpenCompute/llvm-project roc-6.4.0 25133 c7fe45cf4b819c5991fe208aaa96edf142730f1d)"
	.section	".note.GNU-stack","",@progbits
	.addrsig
	.addrsig_sym __hip_cuid_8201fc5df19c78a7
	.amdgpu_metadata
---
amdhsa.kernels:
  - .args:
      - .actual_access:  read_only
        .address_space:  global
        .offset:         0
        .size:           8
        .value_kind:     global_buffer
      - .offset:         8
        .size:           8
        .value_kind:     by_value
      - .actual_access:  read_only
        .address_space:  global
        .offset:         16
        .size:           8
        .value_kind:     global_buffer
      - .actual_access:  read_only
        .address_space:  global
        .offset:         24
        .size:           8
        .value_kind:     global_buffer
      - .actual_access:  read_only
        .address_space:  global
        .offset:         32
        .size:           8
        .value_kind:     global_buffer
      - .offset:         40
        .size:           8
        .value_kind:     by_value
      - .actual_access:  read_only
        .address_space:  global
        .offset:         48
        .size:           8
        .value_kind:     global_buffer
      - .actual_access:  read_only
        .address_space:  global
        .offset:         56
        .size:           8
        .value_kind:     global_buffer
      - .offset:         64
        .size:           4
        .value_kind:     by_value
      - .actual_access:  read_only
        .address_space:  global
        .offset:         72
        .size:           8
        .value_kind:     global_buffer
      - .actual_access:  read_only
        .address_space:  global
        .offset:         80
        .size:           8
        .value_kind:     global_buffer
      - .actual_access:  read_only
        .address_space:  global
        .offset:         88
        .size:           8
        .value_kind:     global_buffer
      - .actual_access:  write_only
        .address_space:  global
        .offset:         96
        .size:           8
        .value_kind:     global_buffer
    .group_segment_fixed_size: 0
    .kernarg_segment_align: 8
    .kernarg_segment_size: 104
    .language:       OpenCL C
    .language_version:
      - 2
      - 0
    .max_flat_workgroup_size: 119
    .name:           fft_rtc_fwd_len289_factors_17_17_wgs_119_tpt_17_dp_op_CI_CI_sbrc_unaligned
    .private_segment_fixed_size: 0
    .sgpr_count:     66
    .sgpr_spill_count: 0
    .symbol:         fft_rtc_fwd_len289_factors_17_17_wgs_119_tpt_17_dp_op_CI_CI_sbrc_unaligned.kd
    .uniform_work_group_size: 1
    .uses_dynamic_stack: false
    .vgpr_count:     215
    .vgpr_spill_count: 0
    .wavefront_size: 32
    .workgroup_processor_mode: 1
amdhsa.target:   amdgcn-amd-amdhsa--gfx1030
amdhsa.version:
  - 1
  - 2
...

	.end_amdgpu_metadata
